;; amdgpu-corpus repo=ROCm/rocFFT kind=compiled arch=gfx950 opt=O3
	.text
	.amdgcn_target "amdgcn-amd-amdhsa--gfx950"
	.amdhsa_code_object_version 6
	.protected	bluestein_single_fwd_len867_dim1_dp_op_CI_CI ; -- Begin function bluestein_single_fwd_len867_dim1_dp_op_CI_CI
	.globl	bluestein_single_fwd_len867_dim1_dp_op_CI_CI
	.p2align	8
	.type	bluestein_single_fwd_len867_dim1_dp_op_CI_CI,@function
bluestein_single_fwd_len867_dim1_dp_op_CI_CI: ; @bluestein_single_fwd_len867_dim1_dp_op_CI_CI
; %bb.0:
	s_load_dwordx4 s[12:15], s[0:1], 0x28
	v_mul_u32_u24_e32 v1, 0x506, v0
	v_mov_b32_e32 v3, 0
	v_add_u32_sdwa v254, s2, v1 dst_sel:DWORD dst_unused:UNUSED_PAD src0_sel:DWORD src1_sel:WORD_1
	v_mov_b32_e32 v255, v3
	s_waitcnt lgkmcnt(0)
	v_cmp_gt_u64_e32 vcc, s[12:13], v[254:255]
	s_and_saveexec_b64 s[2:3], vcc
	s_cbranch_execz .LBB0_10
; %bb.1:
	s_load_dwordx4 s[4:7], s[0:1], 0x18
	s_load_dwordx4 s[8:11], s[0:1], 0x0
	v_mov_b32_e32 v4, s14
	v_mov_b32_e32 v5, s15
	;; [unrolled: 1-line block ×3, first 2 shown]
	s_waitcnt lgkmcnt(0)
	s_load_dwordx4 s[12:15], s[4:5], 0x0
	v_mul_lo_u16_sdwa v1, v1, v2 dst_sel:DWORD dst_unused:UNUSED_PAD src0_sel:WORD_1 src1_sel:DWORD
	v_sub_u16_e32 v2, v0, v1
	v_lshlrev_b32_e32 v252, 4, v2
	v_mov_b32_e32 v253, v3
	s_waitcnt lgkmcnt(0)
	v_mad_u64_u32 v[0:1], s[2:3], s14, v254, 0
	v_mov_b32_e32 v6, v1
	v_mad_u64_u32 v[6:7], s[2:3], s15, v254, v[6:7]
	v_mov_b32_e32 v1, v6
	v_mad_u64_u32 v[6:7], s[2:3], s12, v2, 0
	v_mov_b32_e32 v8, v7
	v_mad_u64_u32 v[8:9], s[2:3], s13, v2, v[8:9]
	s_movk_i32 s33, 0x1000
	v_lshl_add_u64 v[36:37], s[8:9], 0, v[252:253]
	v_mov_b32_e32 v7, v8
	v_lshl_add_u64 v[0:1], v[0:1], 4, v[4:5]
	v_add_co_u32_e32 v4, vcc, s33, v36
	v_lshl_add_u64 v[0:1], v[6:7], 4, v[0:1]
	v_mov_b32_e32 v38, 0x330
	s_movk_i32 s2, 0x2000
	v_addc_co_u32_e32 v5, vcc, 0, v37, vcc
	global_load_dwordx4 v[68:71], v[0:1], off
	global_load_dwordx4 v[8:11], v252, s[8:9]
	v_add_co_u32_e32 v6, vcc, s2, v36
	s_mul_i32 s2, s13, 0x330
	v_mad_u64_u32 v[0:1], s[14:15], s12, v38, v[0:1]
	v_add_u32_e32 v1, s2, v1
	s_load_dwordx4 s[4:7], s[6:7], 0x0
	global_load_dwordx4 v[140:143], v252, s[8:9] offset:816
	global_load_dwordx4 v[64:67], v252, s[8:9] offset:1632
	;; [unrolled: 1-line block ×5, first 2 shown]
	global_load_dwordx4 v[48:51], v[4:5], off offset:800
	global_load_dwordx4 v[40:43], v[4:5], off offset:1616
	global_load_dwordx4 v[84:87], v[0:1], off
	v_mad_u64_u32 v[0:1], s[14:15], s12, v38, v[0:1]
	v_add_u32_e32 v1, s2, v1
	global_load_dwordx4 v[76:79], v[0:1], off
	global_load_dwordx4 v[24:27], v[4:5], off offset:2432
	global_load_dwordx4 v[20:23], v[4:5], off offset:3248
	v_mad_u64_u32 v[0:1], s[14:15], s12, v38, v[0:1]
	v_add_u32_e32 v1, s2, v1
	global_load_dwordx4 v[80:83], v[0:1], off
	v_mad_u64_u32 v[0:1], s[14:15], s12, v38, v[0:1]
	v_add_u32_e32 v1, s2, v1
	v_addc_co_u32_e32 v7, vcc, 0, v37, vcc
	global_load_dwordx4 v[72:75], v[0:1], off
	global_load_dwordx4 v[12:15], v[4:5], off offset:4064
	global_load_dwordx4 v[16:19], v[6:7], off offset:784
	v_mad_u64_u32 v[0:1], s[14:15], s12, v38, v[0:1]
	v_add_u32_e32 v1, s2, v1
	global_load_dwordx4 v[96:99], v[0:1], off
	v_mad_u64_u32 v[0:1], s[14:15], s12, v38, v[0:1]
	v_add_u32_e32 v1, s2, v1
	global_load_dwordx4 v[100:103], v[0:1], off
	;; [unrolled: 3-line block ×9, first 2 shown]
	global_load_dwordx4 v[32:35], v[6:7], off offset:1600
	global_load_dwordx4 v[28:31], v[6:7], off offset:2416
	v_mad_u64_u32 v[0:1], s[14:15], s12, v38, v[0:1]
	v_add_u32_e32 v1, s2, v1
	global_load_dwordx4 v[128:131], v[0:1], off
	v_mad_u64_u32 v[0:1], s[14:15], s12, v38, v[0:1]
	v_add_u32_e32 v1, s2, v1
	global_load_dwordx4 v[132:135], v[0:1], off
	global_load_dwordx4 v[44:47], v[6:7], off offset:3232
	s_nop 0
	global_load_dwordx4 v[4:7], v[6:7], off offset:4048
	v_mad_u64_u32 v[0:1], s[12:13], s12, v38, v[0:1]
	v_add_u32_e32 v1, s2, v1
	s_movk_i32 s2, 0x3000
	global_load_dwordx4 v[136:139], v[0:1], off
	v_add_co_u32_e32 v0, vcc, s2, v36
	s_mov_b32 s38, 0x5d8e7cdc
	s_nop 0
	v_addc_co_u32_e32 v1, vcc, 0, v37, vcc
	global_load_dwordx4 v[36:39], v[0:1], off offset:768
	s_waitcnt vmcnt(32)
	v_mul_f64 v[116:117], v[70:71], v[10:11]
	v_mul_f64 v[0:1], v[68:69], v[10:11]
	v_fmac_f64_e32 v[116:117], v[68:69], v[8:9]
	v_fma_f64 v[118:119], v[70:71], v[8:9], -v[0:1]
	ds_write_b128 v252, v[116:119]
	v_accvgpr_write_b32 a0, v8
	s_mov_b32 s50, 0x2a9d6da3
	s_mov_b32 s2, 0x7c9e640b
	;; [unrolled: 1-line block ×4, first 2 shown]
	s_waitcnt vmcnt(24)
	v_mul_f64 v[68:69], v[86:87], v[142:143]
	v_mul_f64 v[0:1], v[84:85], v[142:143]
	v_fmac_f64_e32 v[68:69], v[84:85], v[140:141]
	v_fma_f64 v[70:71], v[86:87], v[140:141], -v[0:1]
	ds_write_b128 v252, v[68:71] offset:816
	s_waitcnt vmcnt(23)
	v_mul_f64 v[68:69], v[78:79], v[66:67]
	v_mul_f64 v[0:1], v[76:77], v[66:67]
	v_fmac_f64_e32 v[68:69], v[76:77], v[64:65]
	v_fma_f64 v[70:71], v[78:79], v[64:65], -v[0:1]
	ds_write_b128 v252, v[68:71] offset:1632
	s_waitcnt vmcnt(20)
	v_mul_f64 v[68:69], v[82:83], v[62:63]
	v_mul_f64 v[0:1], v[80:81], v[62:63]
	v_fmac_f64_e32 v[68:69], v[80:81], v[60:61]
	v_fma_f64 v[70:71], v[82:83], v[60:61], -v[0:1]
	ds_write_b128 v252, v[68:71] offset:2448
	s_waitcnt vmcnt(19)
	v_mul_f64 v[68:69], v[74:75], v[58:59]
	v_mul_f64 v[0:1], v[72:73], v[58:59]
	v_fmac_f64_e32 v[68:69], v[72:73], v[56:57]
	v_fma_f64 v[70:71], v[74:75], v[56:57], -v[0:1]
	ds_write_b128 v252, v[68:71] offset:3264
	s_waitcnt vmcnt(16)
	v_mul_f64 v[68:69], v[98:99], v[54:55]
	v_mul_f64 v[0:1], v[96:97], v[54:55]
	v_fmac_f64_e32 v[68:69], v[96:97], v[52:53]
	v_fma_f64 v[70:71], v[98:99], v[52:53], -v[0:1]
	ds_write_b128 v252, v[68:71] offset:4080
	s_waitcnt vmcnt(15)
	v_mul_f64 v[68:69], v[102:103], v[50:51]
	v_mul_f64 v[0:1], v[100:101], v[50:51]
	v_fmac_f64_e32 v[68:69], v[100:101], v[48:49]
	v_fma_f64 v[70:71], v[102:103], v[48:49], -v[0:1]
	ds_write_b128 v252, v[68:71] offset:4896
	s_waitcnt vmcnt(14)
	v_mul_f64 v[68:69], v[106:107], v[42:43]
	v_mul_f64 v[0:1], v[104:105], v[42:43]
	v_fmac_f64_e32 v[68:69], v[104:105], v[40:41]
	v_fma_f64 v[70:71], v[106:107], v[40:41], -v[0:1]
	ds_write_b128 v252, v[68:71] offset:5712
	s_waitcnt vmcnt(13)
	v_mul_f64 v[68:69], v[110:111], v[26:27]
	v_mul_f64 v[0:1], v[108:109], v[26:27]
	v_fmac_f64_e32 v[68:69], v[108:109], v[24:25]
	v_fma_f64 v[70:71], v[110:111], v[24:25], -v[0:1]
	ds_write_b128 v252, v[68:71] offset:6528
	s_waitcnt vmcnt(12)
	v_mul_f64 v[68:69], v[114:115], v[22:23]
	v_mul_f64 v[0:1], v[112:113], v[22:23]
	v_fmac_f64_e32 v[68:69], v[112:113], v[20:21]
	v_fma_f64 v[70:71], v[114:115], v[20:21], -v[0:1]
	ds_write_b128 v252, v[68:71] offset:7344
	s_waitcnt vmcnt(11)
	v_mul_f64 v[68:69], v[94:95], v[14:15]
	v_mul_f64 v[0:1], v[92:93], v[14:15]
	v_fmac_f64_e32 v[68:69], v[92:93], v[12:13]
	v_fma_f64 v[70:71], v[94:95], v[12:13], -v[0:1]
	ds_write_b128 v252, v[68:71] offset:8160
	s_waitcnt vmcnt(10)
	v_mul_f64 v[68:69], v[90:91], v[18:19]
	v_mul_f64 v[0:1], v[88:89], v[18:19]
	v_fmac_f64_e32 v[68:69], v[88:89], v[16:17]
	v_fma_f64 v[70:71], v[90:91], v[16:17], -v[0:1]
	ds_write_b128 v252, v[68:71] offset:8976
	s_waitcnt vmcnt(7)
	v_mul_f64 v[68:69], v[122:123], v[34:35]
	v_mul_f64 v[0:1], v[120:121], v[34:35]
	v_fmac_f64_e32 v[68:69], v[120:121], v[32:33]
	v_fma_f64 v[70:71], v[122:123], v[32:33], -v[0:1]
	ds_write_b128 v252, v[68:71] offset:9792
	s_waitcnt vmcnt(6)
	v_mul_f64 v[68:69], v[126:127], v[30:31]
	v_mul_f64 v[0:1], v[124:125], v[30:31]
	v_fmac_f64_e32 v[68:69], v[124:125], v[28:29]
	v_fma_f64 v[70:71], v[126:127], v[28:29], -v[0:1]
	ds_write_b128 v252, v[68:71] offset:10608
	s_waitcnt vmcnt(3)
	v_mul_f64 v[68:69], v[130:131], v[46:47]
	v_mul_f64 v[0:1], v[128:129], v[46:47]
	v_fmac_f64_e32 v[68:69], v[128:129], v[44:45]
	v_fma_f64 v[70:71], v[130:131], v[44:45], -v[0:1]
	ds_write_b128 v252, v[68:71] offset:11424
	s_waitcnt vmcnt(2)
	v_mul_f64 v[68:69], v[134:135], v[6:7]
	v_mul_f64 v[0:1], v[132:133], v[6:7]
	v_fmac_f64_e32 v[68:69], v[132:133], v[4:5]
	v_fma_f64 v[70:71], v[134:135], v[4:5], -v[0:1]
	ds_write_b128 v252, v[68:71] offset:12240
	s_waitcnt vmcnt(0)
	v_mul_f64 v[68:69], v[138:139], v[38:39]
	v_mul_f64 v[0:1], v[136:137], v[38:39]
	v_accvgpr_write_b32 a27, v7
	v_fmac_f64_e32 v[68:69], v[136:137], v[36:37]
	v_fma_f64 v[70:71], v[138:139], v[36:37], -v[0:1]
	v_accvgpr_write_b32 a26, v6
	v_accvgpr_write_b32 a25, v5
	;; [unrolled: 1-line block ×3, first 2 shown]
	ds_write_b128 v252, v[68:71] offset:13056
	s_waitcnt lgkmcnt(0)
	; wave barrier
	s_waitcnt lgkmcnt(0)
	ds_read_b128 v[124:127], v252
	ds_read_b128 v[132:135], v252 offset:816
	ds_read_b128 v[120:123], v252 offset:1632
	;; [unrolled: 1-line block ×16, first 2 shown]
	s_waitcnt lgkmcnt(14)
	v_add_f64 v[0:1], v[124:125], v[132:133]
	v_add_f64 v[4:5], v[126:127], v[134:135]
	;; [unrolled: 1-line block ×4, first 2 shown]
	s_waitcnt lgkmcnt(13)
	v_add_f64 v[0:1], v[0:1], v[112:113]
	v_add_f64 v[4:5], v[4:5], v[114:115]
	s_waitcnt lgkmcnt(12)
	v_add_f64 v[0:1], v[0:1], v[104:105]
	v_add_f64 v[4:5], v[4:5], v[106:107]
	s_waitcnt lgkmcnt(11)
	v_add_f64 v[0:1], v[0:1], v[96:97]
	v_add_f64 v[4:5], v[4:5], v[98:99]
	s_waitcnt lgkmcnt(10)
	v_add_f64 v[0:1], v[0:1], v[88:89]
	v_add_f64 v[4:5], v[4:5], v[90:91]
	s_waitcnt lgkmcnt(9)
	v_add_f64 v[0:1], v[0:1], v[80:81]
	v_add_f64 v[4:5], v[4:5], v[82:83]
	s_waitcnt lgkmcnt(8)
	v_add_f64 v[0:1], v[0:1], v[72:73]
	v_add_f64 v[4:5], v[4:5], v[74:75]
	s_waitcnt lgkmcnt(7)
	v_add_f64 v[0:1], v[0:1], v[76:77]
	v_add_f64 v[4:5], v[4:5], v[78:79]
	s_waitcnt lgkmcnt(6)
	v_add_f64 v[0:1], v[0:1], v[84:85]
	v_add_f64 v[4:5], v[4:5], v[86:87]
	s_waitcnt lgkmcnt(5)
	v_add_f64 v[0:1], v[0:1], v[92:93]
	v_add_f64 v[4:5], v[4:5], v[94:95]
	s_waitcnt lgkmcnt(4)
	v_add_f64 v[0:1], v[0:1], v[100:101]
	v_add_f64 v[4:5], v[4:5], v[102:103]
	s_waitcnt lgkmcnt(3)
	v_add_f64 v[0:1], v[0:1], v[108:109]
	v_add_f64 v[4:5], v[4:5], v[110:111]
	s_waitcnt lgkmcnt(2)
	v_add_f64 v[0:1], v[0:1], v[116:117]
	v_add_f64 v[4:5], v[4:5], v[118:119]
	s_mov_b32 s24, 0x6c9a05f6
	s_mov_b32 s34, 0x4363dd80
	;; [unrolled: 1-line block ×3, first 2 shown]
	v_accvgpr_write_b32 a1, v9
	v_accvgpr_write_b32 a2, v10
	;; [unrolled: 1-line block ×4, first 2 shown]
	s_waitcnt lgkmcnt(1)
	v_add_f64 v[0:1], v[0:1], v[128:129]
	v_add_f64 v[4:5], v[4:5], v[130:131]
	s_waitcnt lgkmcnt(0)
	v_add_f64 v[8:9], v[134:135], -v[138:139]
	s_mov_b32 s39, 0xbfd71e95
	s_mov_b32 s51, 0xbfe58eea
	;; [unrolled: 1-line block ×9, first 2 shown]
	v_accvgpr_write_b32 a65, v141
	v_accvgpr_write_b32 a66, v142
	;; [unrolled: 1-line block ×3, first 2 shown]
	v_add_f64 v[68:69], v[0:1], v[136:137]
	v_add_f64 v[70:71], v[4:5], v[138:139]
	;; [unrolled: 1-line block ×4, first 2 shown]
	v_mul_f64 v[10:11], v[8:9], s[38:39]
	s_mov_b32 s26, 0x370991
	v_mul_f64 v[134:135], v[8:9], s[50:51]
	s_mov_b32 s22, 0x75d4884
	;; [unrolled: 2-line block ×8, first 2 shown]
	v_accvgpr_write_b32 a4, v12
	v_add_f64 v[6:7], v[132:133], -v[136:137]
	s_mov_b32 s27, 0x3fedd6d0
	s_mov_b32 s23, 0x3fe7a5f6
	;; [unrolled: 1-line block ×7, first 2 shown]
	v_fma_f64 v[182:183], v[0:1], s[36:37], -v[8:9]
	v_fmac_f64_e32 v[8:9], s[36:37], v[0:1]
	v_accvgpr_write_b32 a5, v13
	v_accvgpr_write_b32 a6, v14
	;; [unrolled: 1-line block ×3, first 2 shown]
	v_fma_f64 v[12:13], v[0:1], s[26:27], -v[10:11]
	v_mul_f64 v[14:15], v[6:7], s[38:39]
	v_fmac_f64_e32 v[10:11], s[26:27], v[0:1]
	v_fma_f64 v[136:137], v[0:1], s[22:23], -v[134:135]
	v_mul_f64 v[138:139], v[6:7], s[50:51]
	v_fmac_f64_e32 v[134:135], s[22:23], v[0:1]
	;; [unrolled: 3-line block ×7, first 2 shown]
	v_mul_f64 v[6:7], v[6:7], s[40:41]
	v_add_f64 v[0:1], v[124:125], v[8:9]
	v_add_f64 v[8:9], v[122:123], v[130:131]
	v_add_f64 v[122:123], v[122:123], -v[130:131]
	v_add_f64 v[12:13], v[124:125], v[12:13]
	v_fma_f64 v[132:133], s[26:27], v[4:5], v[14:15]
	v_add_f64 v[10:11], v[124:125], v[10:11]
	v_fma_f64 v[14:15], v[4:5], s[26:27], -v[14:15]
	v_add_f64 v[136:137], v[124:125], v[136:137]
	v_fma_f64 v[140:141], s[22:23], v[4:5], v[138:139]
	v_add_f64 v[134:135], v[124:125], v[134:135]
	v_fma_f64 v[138:139], v[4:5], s[22:23], -v[138:139]
	;; [unrolled: 4-line block ×7, first 2 shown]
	v_add_f64 v[182:183], v[124:125], v[182:183]
	v_fma_f64 v[184:185], s[36:37], v[4:5], v[6:7]
	v_fma_f64 v[4:5], v[4:5], s[36:37], -v[6:7]
	v_add_f64 v[6:7], v[120:121], v[128:129]
	v_mul_f64 v[124:125], v[122:123], s[50:51]
	v_add_f64 v[132:133], v[126:127], v[132:133]
	v_add_f64 v[14:15], v[126:127], v[14:15]
	;; [unrolled: 1-line block ×16, first 2 shown]
	v_add_f64 v[120:121], v[120:121], -v[128:129]
	v_fma_f64 v[126:127], v[6:7], s[22:23], -v[124:125]
	v_add_f64 v[12:13], v[126:127], v[12:13]
	v_mul_f64 v[126:127], v[120:121], s[50:51]
	v_fmac_f64_e32 v[124:125], s[22:23], v[6:7]
	v_add_f64 v[10:11], v[124:125], v[10:11]
	v_fma_f64 v[124:125], v[8:9], s[22:23], -v[126:127]
	v_add_f64 v[14:15], v[124:125], v[14:15]
	v_mul_f64 v[124:125], v[122:123], s[42:43]
	v_fma_f64 v[128:129], s[22:23], v[8:9], v[126:127]
	v_fma_f64 v[126:127], v[6:7], s[12:13], -v[124:125]
	v_mul_f64 v[130:131], v[120:121], s[42:43]
	v_fmac_f64_e32 v[124:125], s[12:13], v[6:7]
	v_add_f64 v[128:129], v[128:129], v[132:133]
	v_fma_f64 v[132:133], s[12:13], v[8:9], v[130:131]
	v_add_f64 v[124:125], v[124:125], v[134:135]
	v_fma_f64 v[130:131], v[8:9], s[12:13], -v[130:131]
	v_mul_f64 v[134:135], v[122:123], s[24:25]
	v_add_f64 v[126:127], v[126:127], v[136:137]
	v_add_f64 v[130:131], v[130:131], v[138:139]
	v_fma_f64 v[136:137], v[6:7], s[20:21], -v[134:135]
	v_mul_f64 v[138:139], v[120:121], s[24:25]
	v_fmac_f64_e32 v[134:135], s[20:21], v[6:7]
	v_add_f64 v[132:133], v[132:133], v[140:141]
	v_fma_f64 v[140:141], s[20:21], v[8:9], v[138:139]
	v_add_f64 v[134:135], v[134:135], v[142:143]
	v_fma_f64 v[138:139], v[8:9], s[20:21], -v[138:139]
	v_mul_f64 v[142:143], v[122:123], s[40:41]
	v_add_f64 v[136:137], v[136:137], v[144:145]
	v_add_f64 v[138:139], v[138:139], v[146:147]
	v_fma_f64 v[144:145], v[6:7], s[36:37], -v[142:143]
	v_mul_f64 v[146:147], v[120:121], s[40:41]
	v_fmac_f64_e32 v[142:143], s[36:37], v[6:7]
	s_mov_b32 s55, 0x3fe0d888
	s_mov_b32 s54, s34
	v_add_f64 v[140:141], v[140:141], v[148:149]
	v_fma_f64 v[148:149], s[36:37], v[8:9], v[146:147]
	v_add_f64 v[142:143], v[142:143], v[150:151]
	v_fma_f64 v[146:147], v[8:9], s[36:37], -v[146:147]
	v_mul_f64 v[150:151], v[122:123], s[54:55]
	v_add_f64 v[144:145], v[144:145], v[152:153]
	v_add_f64 v[146:147], v[146:147], v[154:155]
	v_fma_f64 v[152:153], v[6:7], s[30:31], -v[150:151]
	v_mul_f64 v[154:155], v[120:121], s[54:55]
	v_fmac_f64_e32 v[150:151], s[30:31], v[6:7]
	s_mov_b32 s53, 0x3feec746
	s_mov_b32 s52, s16
	;; [unrolled: 12-line block ×3, first 2 shown]
	v_add_f64 v[156:157], v[156:157], v[164:165]
	v_fma_f64 v[164:165], s[14:15], v[8:9], v[162:163]
	v_add_f64 v[158:159], v[158:159], v[166:167]
	v_fma_f64 v[162:163], v[8:9], s[14:15], -v[162:163]
	v_mul_f64 v[166:167], v[122:123], s[28:29]
	s_mov_b32 s45, 0x3fd71e95
	s_mov_b32 s44, s38
	v_add_f64 v[160:161], v[160:161], v[168:169]
	v_add_f64 v[162:163], v[162:163], v[170:171]
	v_fma_f64 v[168:169], v[6:7], s[18:19], -v[166:167]
	v_mul_f64 v[170:171], v[120:121], s[28:29]
	v_fmac_f64_e32 v[166:167], s[18:19], v[6:7]
	v_mul_f64 v[122:123], v[122:123], s[44:45]
	v_mul_f64 v[120:121], v[120:121], s[44:45]
	v_add_f64 v[164:165], v[164:165], v[172:173]
	v_add_f64 v[168:169], v[168:169], v[176:177]
	v_fma_f64 v[172:173], s[18:19], v[8:9], v[170:171]
	v_add_f64 v[166:167], v[166:167], v[174:175]
	v_fma_f64 v[170:171], v[8:9], s[18:19], -v[170:171]
	v_fma_f64 v[174:175], v[6:7], s[26:27], -v[122:123]
	v_fma_f64 v[176:177], s[26:27], v[8:9], v[120:121]
	v_fmac_f64_e32 v[122:123], s[26:27], v[6:7]
	v_fma_f64 v[6:7], v[8:9], s[26:27], -v[120:121]
	v_add_f64 v[8:9], v[114:115], v[118:119]
	v_add_f64 v[114:115], v[114:115], -v[118:119]
	v_add_f64 v[4:5], v[6:7], v[4:5]
	v_add_f64 v[6:7], v[112:113], v[116:117]
	v_add_f64 v[112:113], v[112:113], -v[116:117]
	v_mul_f64 v[116:117], v[114:115], s[2:3]
	v_fma_f64 v[118:119], v[6:7], s[18:19], -v[116:117]
	v_add_f64 v[12:13], v[118:119], v[12:13]
	v_mul_f64 v[118:119], v[112:113], s[2:3]
	v_fmac_f64_e32 v[116:117], s[18:19], v[6:7]
	v_add_f64 v[10:11], v[116:117], v[10:11]
	v_fma_f64 v[116:117], v[8:9], s[18:19], -v[118:119]
	v_add_f64 v[14:15], v[116:117], v[14:15]
	v_mul_f64 v[116:117], v[114:115], s[24:25]
	v_add_f64 v[0:1], v[122:123], v[0:1]
	v_fma_f64 v[120:121], s[18:19], v[8:9], v[118:119]
	v_fma_f64 v[118:119], v[6:7], s[20:21], -v[116:117]
	v_mul_f64 v[122:123], v[112:113], s[24:25]
	v_fmac_f64_e32 v[116:117], s[20:21], v[6:7]
	s_mov_b32 s59, 0x3fc7851a
	s_mov_b32 s58, s40
	v_add_f64 v[118:119], v[118:119], v[126:127]
	v_fma_f64 v[126:127], s[20:21], v[8:9], v[122:123]
	v_add_f64 v[116:117], v[116:117], v[124:125]
	v_fma_f64 v[122:123], v[8:9], s[20:21], -v[122:123]
	v_mul_f64 v[124:125], v[114:115], s[58:59]
	v_add_f64 v[120:121], v[120:121], v[128:129]
	v_add_f64 v[122:123], v[122:123], v[130:131]
	v_fma_f64 v[128:129], v[6:7], s[36:37], -v[124:125]
	v_mul_f64 v[130:131], v[112:113], s[58:59]
	v_fmac_f64_e32 v[124:125], s[36:37], v[6:7]
	v_add_f64 v[126:127], v[126:127], v[132:133]
	v_fma_f64 v[132:133], s[36:37], v[8:9], v[130:131]
	v_add_f64 v[124:125], v[124:125], v[134:135]
	v_fma_f64 v[130:131], v[8:9], s[36:37], -v[130:131]
	v_mul_f64 v[134:135], v[114:115], s[52:53]
	v_add_f64 v[128:129], v[128:129], v[136:137]
	v_add_f64 v[130:131], v[130:131], v[138:139]
	v_fma_f64 v[136:137], v[6:7], s[14:15], -v[134:135]
	v_mul_f64 v[138:139], v[112:113], s[52:53]
	v_fmac_f64_e32 v[134:135], s[14:15], v[6:7]
	s_mov_b32 s47, 0x3fe58eea
	s_mov_b32 s46, s50
	v_add_f64 v[132:133], v[132:133], v[140:141]
	v_fma_f64 v[140:141], s[14:15], v[8:9], v[138:139]
	v_add_f64 v[134:135], v[134:135], v[142:143]
	v_fma_f64 v[138:139], v[8:9], s[14:15], -v[138:139]
	v_mul_f64 v[142:143], v[114:115], s[46:47]
	v_add_f64 v[136:137], v[136:137], v[144:145]
	v_add_f64 v[138:139], v[138:139], v[146:147]
	v_fma_f64 v[144:145], v[6:7], s[22:23], -v[142:143]
	v_mul_f64 v[146:147], v[112:113], s[46:47]
	v_fmac_f64_e32 v[142:143], s[22:23], v[6:7]
	v_add_f64 v[140:141], v[140:141], v[148:149]
	v_fma_f64 v[148:149], s[22:23], v[8:9], v[146:147]
	v_add_f64 v[142:143], v[142:143], v[150:151]
	v_fma_f64 v[146:147], v[8:9], s[22:23], -v[146:147]
	v_mul_f64 v[150:151], v[114:115], s[38:39]
	v_add_f64 v[144:145], v[144:145], v[152:153]
	v_add_f64 v[146:147], v[146:147], v[154:155]
	v_fma_f64 v[152:153], v[6:7], s[26:27], -v[150:151]
	v_mul_f64 v[154:155], v[112:113], s[38:39]
	v_fmac_f64_e32 v[150:151], s[26:27], v[6:7]
	;; [unrolled: 10-line block ×3, first 2 shown]
	v_mul_f64 v[114:115], v[114:115], s[34:35]
	v_mul_f64 v[112:113], v[112:113], s[34:35]
	v_add_f64 v[156:157], v[156:157], v[164:165]
	v_add_f64 v[160:161], v[160:161], v[168:169]
	v_fma_f64 v[164:165], s[12:13], v[8:9], v[162:163]
	v_add_f64 v[158:159], v[158:159], v[166:167]
	v_fma_f64 v[162:163], v[8:9], s[12:13], -v[162:163]
	v_fma_f64 v[166:167], v[6:7], s[30:31], -v[114:115]
	v_fma_f64 v[168:169], s[30:31], v[8:9], v[112:113]
	v_fmac_f64_e32 v[114:115], s[30:31], v[6:7]
	v_fma_f64 v[6:7], v[8:9], s[30:31], -v[112:113]
	v_add_f64 v[8:9], v[106:107], v[110:111]
	v_add_f64 v[106:107], v[106:107], -v[110:111]
	v_add_f64 v[4:5], v[6:7], v[4:5]
	v_add_f64 v[6:7], v[104:105], v[108:109]
	v_add_f64 v[104:105], v[104:105], -v[108:109]
	v_mul_f64 v[108:109], v[106:107], s[42:43]
	v_fma_f64 v[110:111], v[6:7], s[12:13], -v[108:109]
	v_add_f64 v[12:13], v[110:111], v[12:13]
	v_mul_f64 v[110:111], v[104:105], s[42:43]
	v_fmac_f64_e32 v[108:109], s[12:13], v[6:7]
	v_add_f64 v[10:11], v[108:109], v[10:11]
	v_fma_f64 v[108:109], v[8:9], s[12:13], -v[110:111]
	v_add_f64 v[14:15], v[108:109], v[14:15]
	v_mul_f64 v[108:109], v[106:107], s[40:41]
	v_fma_f64 v[112:113], s[12:13], v[8:9], v[110:111]
	v_fma_f64 v[110:111], v[6:7], s[36:37], -v[108:109]
	v_fmac_f64_e32 v[108:109], s[36:37], v[6:7]
	v_add_f64 v[0:1], v[114:115], v[0:1]
	v_mul_f64 v[114:115], v[104:105], s[40:41]
	v_add_f64 v[108:109], v[108:109], v[116:117]
	v_mul_f64 v[116:117], v[106:107], s[52:53]
	v_add_f64 v[112:113], v[112:113], v[120:121]
	v_add_f64 v[110:111], v[110:111], v[118:119]
	v_fma_f64 v[118:119], s[36:37], v[8:9], v[114:115]
	v_fma_f64 v[114:115], v[8:9], s[36:37], -v[114:115]
	v_fma_f64 v[120:121], v[6:7], s[14:15], -v[116:117]
	v_fmac_f64_e32 v[116:117], s[14:15], v[6:7]
	v_add_f64 v[114:115], v[114:115], v[122:123]
	v_mul_f64 v[122:123], v[104:105], s[52:53]
	v_add_f64 v[116:117], v[116:117], v[124:125]
	v_mul_f64 v[124:125], v[106:107], s[44:45]
	v_add_f64 v[118:119], v[118:119], v[126:127]
	v_add_f64 v[120:121], v[120:121], v[128:129]
	v_fma_f64 v[126:127], s[14:15], v[8:9], v[122:123]
	v_fma_f64 v[122:123], v[8:9], s[14:15], -v[122:123]
	v_fma_f64 v[128:129], v[6:7], s[26:27], -v[124:125]
	v_add_f64 v[122:123], v[122:123], v[130:131]
	v_add_f64 v[130:131], v[128:129], v[136:137]
	v_mul_f64 v[128:129], v[104:105], s[44:45]
	v_add_f64 v[126:127], v[126:127], v[132:133]
	v_fma_f64 v[132:133], s[26:27], v[8:9], v[128:129]
	v_fmac_f64_e32 v[124:125], s[26:27], v[6:7]
	v_fma_f64 v[128:129], v[8:9], s[26:27], -v[128:129]
	v_add_f64 v[124:125], v[124:125], v[134:135]
	v_add_f64 v[134:135], v[128:129], v[138:139]
	v_mul_f64 v[128:129], v[106:107], s[2:3]
	v_add_f64 v[172:173], v[172:173], v[180:181]
	v_fma_f64 v[136:137], v[6:7], s[18:19], -v[128:129]
	v_mul_f64 v[138:139], v[104:105], s[2:3]
	v_fmac_f64_e32 v[128:129], s[18:19], v[6:7]
	v_add_f64 v[174:175], v[174:175], v[182:183]
	v_add_f64 v[164:165], v[164:165], v[172:173]
	;; [unrolled: 1-line block ×3, first 2 shown]
	v_fma_f64 v[128:129], v[8:9], s[18:19], -v[138:139]
	v_add_f64 v[166:167], v[166:167], v[174:175]
	v_add_f64 v[174:175], v[128:129], v[146:147]
	v_mul_f64 v[128:129], v[106:107], s[34:35]
	v_add_f64 v[176:177], v[176:177], v[184:185]
	v_add_f64 v[132:133], v[132:133], v[140:141]
	v_fma_f64 v[140:141], s[18:19], v[8:9], v[138:139]
	v_fma_f64 v[138:139], v[6:7], s[30:31], -v[128:129]
	v_add_f64 v[168:169], v[168:169], v[176:177]
	v_add_f64 v[176:177], v[138:139], v[152:153]
	v_mul_f64 v[138:139], v[104:105], s[34:35]
	v_fmac_f64_e32 v[128:129], s[30:31], v[6:7]
	v_add_f64 v[180:181], v[128:129], v[150:151]
	v_fma_f64 v[128:129], v[8:9], s[30:31], -v[138:139]
	s_mov_b32 s57, 0x3fe9895b
	s_mov_b32 s56, s24
	v_add_f64 v[170:171], v[170:171], v[178:179]
	v_add_f64 v[182:183], v[128:129], v[154:155]
	v_mul_f64 v[128:129], v[106:107], s[56:57]
	v_add_f64 v[162:163], v[162:163], v[170:171]
	v_add_f64 v[170:171], v[140:141], v[148:149]
	v_fma_f64 v[140:141], s[30:31], v[8:9], v[138:139]
	v_fma_f64 v[138:139], v[6:7], s[20:21], -v[128:129]
	v_add_f64 v[160:161], v[138:139], v[160:161]
	v_mul_f64 v[138:139], v[104:105], s[56:57]
	v_fmac_f64_e32 v[128:129], s[20:21], v[6:7]
	v_add_f64 v[158:159], v[128:129], v[158:159]
	v_fma_f64 v[128:129], v[8:9], s[20:21], -v[138:139]
	v_mul_f64 v[106:107], v[106:107], s[46:47]
	v_add_f64 v[162:163], v[128:129], v[162:163]
	v_fma_f64 v[128:129], v[6:7], s[22:23], -v[106:107]
	v_mul_f64 v[104:105], v[104:105], s[46:47]
	v_fmac_f64_e32 v[106:107], s[22:23], v[6:7]
	v_add_f64 v[0:1], v[106:107], v[0:1]
	v_fma_f64 v[6:7], v[8:9], s[22:23], -v[104:105]
	v_add_f64 v[106:107], v[98:99], -v[102:103]
	v_add_f64 v[178:179], v[140:141], v[156:157]
	v_fma_f64 v[140:141], s[20:21], v[8:9], v[138:139]
	v_add_f64 v[166:167], v[128:129], v[166:167]
	v_fma_f64 v[128:129], s[22:23], v[8:9], v[104:105]
	v_add_f64 v[4:5], v[6:7], v[4:5]
	v_add_f64 v[6:7], v[96:97], v[100:101]
	;; [unrolled: 1-line block ×3, first 2 shown]
	v_mul_f64 v[98:99], v[106:107], s[16:17]
	v_add_f64 v[96:97], v[96:97], -v[100:101]
	v_fma_f64 v[100:101], v[6:7], s[14:15], -v[98:99]
	v_add_f64 v[154:155], v[100:101], v[12:13]
	v_mul_f64 v[12:13], v[96:97], s[16:17]
	v_fmac_f64_e32 v[98:99], s[14:15], v[6:7]
	v_add_f64 v[146:147], v[98:99], v[10:11]
	v_fma_f64 v[10:11], v[8:9], s[14:15], -v[12:13]
	v_add_f64 v[148:149], v[10:11], v[14:15]
	v_mul_f64 v[10:11], v[106:107], s[54:55]
	v_fma_f64 v[100:101], s[14:15], v[8:9], v[12:13]
	v_fma_f64 v[12:13], v[6:7], s[30:31], -v[10:11]
	v_add_f64 v[150:151], v[12:13], v[110:111]
	v_mul_f64 v[12:13], v[96:97], s[54:55]
	v_fmac_f64_e32 v[10:11], s[30:31], v[6:7]
	v_add_f64 v[138:139], v[10:11], v[108:109]
	v_fma_f64 v[10:11], v[8:9], s[30:31], -v[12:13]
	v_add_f64 v[164:165], v[140:141], v[164:165]
	v_add_f64 v[140:141], v[10:11], v[114:115]
	v_mul_f64 v[10:11], v[106:107], s[46:47]
	v_fma_f64 v[14:15], s[30:31], v[8:9], v[12:13]
	v_fma_f64 v[12:13], v[6:7], s[22:23], -v[10:11]
	v_add_f64 v[142:143], v[12:13], v[120:121]
	v_mul_f64 v[12:13], v[96:97], s[46:47]
	v_add_f64 v[152:153], v[14:15], v[118:119]
	v_fma_f64 v[14:15], s[22:23], v[8:9], v[12:13]
	v_fmac_f64_e32 v[10:11], s[22:23], v[6:7]
	v_add_f64 v[136:137], v[136:137], v[144:145]
	v_add_f64 v[144:145], v[14:15], v[126:127]
	;; [unrolled: 1-line block ×3, first 2 shown]
	v_fma_f64 v[10:11], v[8:9], s[22:23], -v[12:13]
	v_add_f64 v[168:169], v[128:129], v[168:169]
	v_add_f64 v[128:129], v[10:11], v[122:123]
	v_mul_f64 v[10:11], v[106:107], s[2:3]
	v_fma_f64 v[12:13], v[6:7], s[18:19], -v[10:11]
	v_add_f64 v[130:131], v[12:13], v[130:131]
	v_mul_f64 v[12:13], v[96:97], s[2:3]
	v_fmac_f64_e32 v[10:11], s[18:19], v[6:7]
	v_add_f64 v[110:111], v[10:11], v[124:125]
	v_fma_f64 v[10:11], v[8:9], s[18:19], -v[12:13]
	v_add_f64 v[156:157], v[100:101], v[112:113]
	v_add_f64 v[112:113], v[10:11], v[134:135]
	v_mul_f64 v[10:11], v[106:107], s[40:41]
	v_fma_f64 v[14:15], s[18:19], v[8:9], v[12:13]
	v_fma_f64 v[12:13], v[6:7], s[36:37], -v[10:11]
	v_add_f64 v[114:115], v[12:13], v[136:137]
	v_mul_f64 v[12:13], v[96:97], s[40:41]
	v_fmac_f64_e32 v[10:11], s[36:37], v[6:7]
	v_add_f64 v[98:99], v[10:11], v[172:173]
	v_fma_f64 v[10:11], v[8:9], s[36:37], -v[12:13]
	s_mov_b32 s49, 0x3fefdd0d
	s_mov_b32 s48, s42
	v_add_f64 v[100:101], v[10:11], v[174:175]
	v_mul_f64 v[10:11], v[106:107], s[48:49]
	v_add_f64 v[132:133], v[14:15], v[132:133]
	v_fma_f64 v[14:15], s[36:37], v[8:9], v[12:13]
	v_fma_f64 v[12:13], v[6:7], s[12:13], -v[10:11]
	v_add_f64 v[134:135], v[12:13], v[176:177]
	v_mul_f64 v[12:13], v[96:97], s[48:49]
	v_fmac_f64_e32 v[10:11], s[12:13], v[6:7]
	v_add_f64 v[118:119], v[10:11], v[180:181]
	v_fma_f64 v[10:11], v[8:9], s[12:13], -v[12:13]
	v_add_f64 v[120:121], v[10:11], v[182:183]
	v_mul_f64 v[10:11], v[106:107], s[38:39]
	v_add_f64 v[116:117], v[14:15], v[170:171]
	v_fma_f64 v[14:15], s[12:13], v[8:9], v[12:13]
	v_fma_f64 v[12:13], v[6:7], s[26:27], -v[10:11]
	v_add_f64 v[122:123], v[12:13], v[160:161]
	v_mul_f64 v[12:13], v[96:97], s[38:39]
	v_fmac_f64_e32 v[10:11], s[26:27], v[6:7]
	v_add_f64 v[102:103], v[10:11], v[158:159]
	v_fma_f64 v[10:11], v[8:9], s[26:27], -v[12:13]
	v_add_f64 v[104:105], v[10:11], v[162:163]
	v_mul_f64 v[10:11], v[106:107], s[24:25]
	v_add_f64 v[136:137], v[14:15], v[178:179]
	v_fma_f64 v[14:15], s[26:27], v[8:9], v[12:13]
	v_fma_f64 v[12:13], v[6:7], s[20:21], -v[10:11]
	v_add_f64 v[106:107], v[12:13], v[166:167]
	v_mul_f64 v[12:13], v[96:97], s[24:25]
	v_add_f64 v[158:159], v[90:91], v[94:95]
	v_add_f64 v[90:91], v[90:91], -v[94:95]
	v_add_f64 v[124:125], v[14:15], v[164:165]
	v_fma_f64 v[14:15], s[20:21], v[8:9], v[12:13]
	v_fmac_f64_e32 v[10:11], s[20:21], v[6:7]
	v_fma_f64 v[6:7], v[8:9], s[20:21], -v[12:13]
	v_add_f64 v[160:161], v[88:89], v[92:93]
	v_add_f64 v[88:89], v[88:89], -v[92:93]
	v_mul_f64 v[12:13], v[90:91], s[52:53]
	v_add_f64 v[108:109], v[14:15], v[168:169]
	v_fma_f64 v[14:15], v[160:161], s[14:15], -v[12:13]
	v_mul_f64 v[92:93], v[88:89], s[52:53]
	v_fmac_f64_e32 v[12:13], s[14:15], v[160:161]
	v_fma_f64 v[94:95], s[14:15], v[158:159], v[92:93]
	v_add_f64 v[12:13], v[12:13], v[138:139]
	v_fma_f64 v[92:93], v[158:159], s[14:15], -v[92:93]
	v_mul_f64 v[138:139], v[90:91], s[38:39]
	v_add_f64 v[92:93], v[92:93], v[140:141]
	v_fma_f64 v[140:141], v[160:161], s[26:27], -v[138:139]
	v_add_f64 v[140:141], v[140:141], v[142:143]
	v_mul_f64 v[142:143], v[88:89], s[38:39]
	v_fmac_f64_e32 v[138:139], s[26:27], v[160:161]
	v_add_f64 v[96:97], v[6:7], v[4:5]
	v_mul_f64 v[4:5], v[90:91], s[24:25]
	v_add_f64 v[126:127], v[138:139], v[126:127]
	v_fma_f64 v[138:139], v[158:159], s[26:27], -v[142:143]
	v_fma_f64 v[6:7], v[160:161], s[20:21], -v[4:5]
	v_fmac_f64_e32 v[4:5], s[20:21], v[160:161]
	v_add_f64 v[128:129], v[138:139], v[128:129]
	v_mul_f64 v[138:139], v[90:91], s[34:35]
	v_add_f64 v[4:5], v[4:5], v[146:147]
	v_fma_f64 v[146:147], s[26:27], v[158:159], v[142:143]
	v_fma_f64 v[142:143], v[160:161], s[30:31], -v[138:139]
	v_add_f64 v[130:131], v[142:143], v[130:131]
	v_mul_f64 v[142:143], v[88:89], s[34:35]
	v_fmac_f64_e32 v[138:139], s[30:31], v[160:161]
	v_add_f64 v[110:111], v[138:139], v[110:111]
	v_fma_f64 v[138:139], v[158:159], s[30:31], -v[142:143]
	v_add_f64 v[112:113], v[138:139], v[112:113]
	v_mul_f64 v[138:139], v[90:91], s[48:49]
	v_add_f64 v[144:145], v[146:147], v[144:145]
	v_fma_f64 v[146:147], s[30:31], v[158:159], v[142:143]
	v_fma_f64 v[142:143], v[160:161], s[12:13], -v[138:139]
	v_add_f64 v[114:115], v[142:143], v[114:115]
	v_mul_f64 v[142:143], v[88:89], s[48:49]
	v_fmac_f64_e32 v[138:139], s[12:13], v[160:161]
	v_add_f64 v[98:99], v[138:139], v[98:99]
	v_fma_f64 v[138:139], v[158:159], s[12:13], -v[142:143]
	;; [unrolled: 10-line block ×4, first 2 shown]
	v_mul_f64 v[90:91], v[90:91], s[28:29]
	v_mul_f64 v[8:9], v[88:89], s[24:25]
	v_add_f64 v[104:105], v[138:139], v[104:105]
	v_fma_f64 v[138:139], v[160:161], s[18:19], -v[90:91]
	v_mul_f64 v[88:89], v[88:89], s[28:29]
	v_add_f64 v[106:107], v[138:139], v[106:107]
	v_fma_f64 v[138:139], s[18:19], v[158:159], v[88:89]
	v_fma_f64 v[88:89], v[158:159], s[18:19], -v[88:89]
	v_add_f64 v[0:1], v[10:11], v[0:1]
	v_fmac_f64_e32 v[90:91], s[18:19], v[160:161]
	v_add_f64 v[88:89], v[88:89], v[96:97]
	v_add_f64 v[96:97], v[82:83], v[86:87]
	v_add_f64 v[82:83], v[82:83], -v[86:87]
	v_add_f64 v[0:1], v[90:91], v[0:1]
	v_add_f64 v[90:91], v[80:81], v[84:85]
	v_add_f64 v[80:81], v[80:81], -v[84:85]
	v_mul_f64 v[84:85], v[82:83], s[34:35]
	v_add_f64 v[6:7], v[6:7], v[154:155]
	v_fma_f64 v[86:87], v[90:91], s[30:31], -v[84:85]
	v_fma_f64 v[10:11], s[20:21], v[158:159], v[8:9]
	v_fma_f64 v[8:9], v[158:159], s[20:21], -v[8:9]
	v_add_f64 v[6:7], v[86:87], v[6:7]
	v_mul_f64 v[86:87], v[80:81], s[34:35]
	v_fmac_f64_e32 v[84:85], s[30:31], v[90:91]
	v_add_f64 v[8:9], v[8:9], v[148:149]
	v_add_f64 v[4:5], v[84:85], v[4:5]
	v_fma_f64 v[84:85], v[96:97], s[30:31], -v[86:87]
	v_add_f64 v[8:9], v[84:85], v[8:9]
	v_mul_f64 v[84:85], v[82:83], s[28:29]
	v_add_f64 v[14:15], v[14:15], v[150:151]
	v_add_f64 v[108:109], v[138:139], v[108:109]
	v_fma_f64 v[138:139], s[30:31], v[96:97], v[86:87]
	v_fma_f64 v[86:87], v[90:91], s[18:19], -v[84:85]
	v_add_f64 v[14:15], v[86:87], v[14:15]
	v_mul_f64 v[86:87], v[80:81], s[28:29]
	v_fmac_f64_e32 v[84:85], s[18:19], v[90:91]
	v_add_f64 v[10:11], v[10:11], v[156:157]
	v_add_f64 v[12:13], v[84:85], v[12:13]
	v_fma_f64 v[84:85], v[96:97], s[18:19], -v[86:87]
	v_add_f64 v[94:95], v[94:95], v[152:153]
	v_add_f64 v[10:11], v[138:139], v[10:11]
	v_fma_f64 v[138:139], s[18:19], v[96:97], v[86:87]
	v_add_f64 v[86:87], v[84:85], v[92:93]
	v_mul_f64 v[84:85], v[82:83], s[42:43]
	v_add_f64 v[94:95], v[138:139], v[94:95]
	v_fma_f64 v[92:93], v[90:91], s[12:13], -v[84:85]
	v_mul_f64 v[138:139], v[80:81], s[42:43]
	v_fmac_f64_e32 v[84:85], s[12:13], v[90:91]
	v_add_f64 v[126:127], v[84:85], v[126:127]
	v_fma_f64 v[84:85], v[96:97], s[12:13], -v[138:139]
	v_add_f64 v[128:129], v[84:85], v[128:129]
	v_mul_f64 v[84:85], v[82:83], s[56:57]
	v_add_f64 v[92:93], v[92:93], v[140:141]
	v_fma_f64 v[140:141], s[12:13], v[96:97], v[138:139]
	v_fma_f64 v[138:139], v[90:91], s[20:21], -v[84:85]
	v_add_f64 v[130:131], v[138:139], v[130:131]
	v_mul_f64 v[138:139], v[80:81], s[56:57]
	v_fmac_f64_e32 v[84:85], s[20:21], v[90:91]
	v_add_f64 v[110:111], v[84:85], v[110:111]
	v_fma_f64 v[84:85], v[96:97], s[20:21], -v[138:139]
	v_add_f64 v[112:113], v[84:85], v[112:113]
	v_mul_f64 v[84:85], v[82:83], s[38:39]
	v_add_f64 v[136:137], v[146:147], v[136:137]
	v_fma_f64 v[146:147], s[36:37], v[158:159], v[142:143]
	v_fma_f64 v[142:143], s[20:21], v[96:97], v[138:139]
	v_fma_f64 v[138:139], v[90:91], s[26:27], -v[84:85]
	v_add_f64 v[114:115], v[138:139], v[114:115]
	v_mul_f64 v[138:139], v[80:81], s[38:39]
	v_add_f64 v[132:133], v[142:143], v[132:133]
	v_fma_f64 v[142:143], s[26:27], v[96:97], v[138:139]
	v_fmac_f64_e32 v[84:85], s[26:27], v[90:91]
	v_add_f64 v[116:117], v[142:143], v[116:117]
	v_add_f64 v[142:143], v[84:85], v[98:99]
	v_fma_f64 v[84:85], v[96:97], s[26:27], -v[138:139]
	v_add_f64 v[138:139], v[84:85], v[100:101]
	v_mul_f64 v[84:85], v[82:83], s[40:41]
	v_fma_f64 v[98:99], v[90:91], s[36:37], -v[84:85]
	v_add_f64 v[134:135], v[98:99], v[134:135]
	v_mul_f64 v[98:99], v[80:81], s[40:41]
	v_fmac_f64_e32 v[84:85], s[36:37], v[90:91]
	v_add_f64 v[118:119], v[84:85], v[118:119]
	v_fma_f64 v[84:85], v[96:97], s[36:37], -v[98:99]
	v_add_f64 v[160:161], v[74:75], -v[78:79]
	v_add_f64 v[120:121], v[84:85], v[120:121]
	v_mul_f64 v[84:85], v[82:83], s[46:47]
	v_add_f64 v[154:155], v[72:73], v[76:77]
	v_add_f64 v[158:159], v[72:73], -v[76:77]
	v_mul_f64 v[76:77], v[160:161], s[40:41]
	v_fma_f64 v[100:101], s[36:37], v[96:97], v[98:99]
	v_fma_f64 v[98:99], v[90:91], s[22:23], -v[84:85]
	v_fma_f64 v[72:73], v[154:155], s[36:37], -v[76:77]
	v_add_f64 v[122:123], v[98:99], v[122:123]
	v_mul_f64 v[98:99], v[80:81], s[46:47]
	v_fmac_f64_e32 v[84:85], s[22:23], v[90:91]
	v_add_f64 v[156:157], v[74:75], v[78:79]
	v_add_f64 v[72:73], v[72:73], v[6:7]
	v_mul_f64 v[6:7], v[158:159], s[40:41]
	v_fmac_f64_e32 v[76:77], s[36:37], v[154:155]
	v_add_f64 v[140:141], v[140:141], v[144:145]
	v_add_f64 v[144:145], v[84:85], v[102:103]
	v_fma_f64 v[84:85], v[96:97], s[22:23], -v[98:99]
	v_mul_f64 v[82:83], v[82:83], s[16:17]
	v_add_f64 v[76:77], v[76:77], v[4:5]
	v_fma_f64 v[4:5], v[156:157], s[36:37], -v[6:7]
	v_add_f64 v[124:125], v[146:147], v[124:125]
	v_add_f64 v[146:147], v[84:85], v[104:105]
	v_fma_f64 v[84:85], v[90:91], s[14:15], -v[82:83]
	v_mul_f64 v[80:81], v[80:81], s[16:17]
	v_add_f64 v[78:79], v[4:5], v[8:9]
	v_mul_f64 v[4:5], v[160:161], s[44:45]
	v_add_f64 v[148:149], v[84:85], v[106:107]
	v_fma_f64 v[84:85], s[14:15], v[96:97], v[80:81]
	v_fma_f64 v[80:81], v[96:97], s[14:15], -v[80:81]
	v_fma_f64 v[74:75], s[36:37], v[156:157], v[6:7]
	v_fma_f64 v[6:7], v[154:155], s[26:27], -v[4:5]
	v_add_f64 v[152:153], v[80:81], v[88:89]
	v_add_f64 v[80:81], v[6:7], v[14:15]
	v_mul_f64 v[6:7], v[158:159], s[44:45]
	v_fmac_f64_e32 v[4:5], s[26:27], v[154:155]
	v_add_f64 v[150:151], v[84:85], v[108:109]
	v_add_f64 v[84:85], v[4:5], v[12:13]
	v_fma_f64 v[4:5], v[156:157], s[26:27], -v[6:7]
	v_add_f64 v[86:87], v[4:5], v[86:87]
	v_mul_f64 v[4:5], v[160:161], s[34:35]
	v_fma_f64 v[8:9], s[26:27], v[156:157], v[6:7]
	v_fma_f64 v[6:7], v[154:155], s[30:31], -v[4:5]
	v_add_f64 v[88:89], v[6:7], v[92:93]
	v_mul_f64 v[6:7], v[158:159], s[34:35]
	v_fmac_f64_e32 v[4:5], s[30:31], v[154:155]
	v_fmac_f64_e32 v[82:83], s[14:15], v[90:91]
	v_add_f64 v[92:93], v[4:5], v[126:127]
	v_fma_f64 v[4:5], v[156:157], s[30:31], -v[6:7]
	v_add_f64 v[0:1], v[82:83], v[0:1]
	v_add_f64 v[82:83], v[8:9], v[94:95]
	;; [unrolled: 1-line block ×3, first 2 shown]
	v_mul_f64 v[4:5], v[160:161], s[46:47]
	v_fma_f64 v[8:9], s[30:31], v[156:157], v[6:7]
	v_fma_f64 v[6:7], v[154:155], s[22:23], -v[4:5]
	v_add_f64 v[136:137], v[100:101], v[136:137]
	v_fma_f64 v[100:101], s[22:23], v[96:97], v[98:99]
	v_add_f64 v[96:97], v[6:7], v[130:131]
	v_mul_f64 v[6:7], v[158:159], s[46:47]
	v_fmac_f64_e32 v[4:5], s[22:23], v[154:155]
	v_add_f64 v[124:125], v[100:101], v[124:125]
	v_add_f64 v[100:101], v[4:5], v[110:111]
	v_fma_f64 v[4:5], v[156:157], s[22:23], -v[6:7]
	v_add_f64 v[102:103], v[4:5], v[112:113]
	v_mul_f64 v[4:5], v[160:161], s[24:25]
	v_add_f64 v[90:91], v[8:9], v[140:141]
	v_fma_f64 v[8:9], s[22:23], v[156:157], v[6:7]
	v_fma_f64 v[6:7], v[154:155], s[20:21], -v[4:5]
	v_add_f64 v[104:105], v[6:7], v[114:115]
	v_mul_f64 v[6:7], v[158:159], s[24:25]
	v_fmac_f64_e32 v[4:5], s[20:21], v[154:155]
	v_add_f64 v[108:109], v[4:5], v[142:143]
	v_fma_f64 v[4:5], v[156:157], s[20:21], -v[6:7]
	v_add_f64 v[110:111], v[4:5], v[138:139]
	v_mul_f64 v[4:5], v[160:161], s[28:29]
	v_add_f64 v[98:99], v[8:9], v[132:133]
	v_fma_f64 v[8:9], s[20:21], v[156:157], v[6:7]
	v_fma_f64 v[6:7], v[154:155], s[18:19], -v[4:5]
	v_add_f64 v[112:113], v[6:7], v[134:135]
	v_mul_f64 v[6:7], v[158:159], s[28:29]
	v_fmac_f64_e32 v[4:5], s[18:19], v[154:155]
	v_add_f64 v[106:107], v[8:9], v[116:117]
	v_add_f64 v[116:117], v[4:5], v[118:119]
	v_fma_f64 v[4:5], v[156:157], s[18:19], -v[6:7]
	v_add_f64 v[118:119], v[4:5], v[120:121]
	v_mul_f64 v[4:5], v[160:161], s[16:17]
	v_fma_f64 v[8:9], s[18:19], v[156:157], v[6:7]
	v_fma_f64 v[6:7], v[154:155], s[14:15], -v[4:5]
	v_add_f64 v[120:121], v[6:7], v[122:123]
	v_mul_f64 v[6:7], v[158:159], s[16:17]
	v_add_f64 v[114:115], v[8:9], v[136:137]
	v_fma_f64 v[8:9], s[14:15], v[156:157], v[6:7]
	v_fmac_f64_e32 v[4:5], s[14:15], v[154:155]
	v_add_f64 v[122:123], v[8:9], v[124:125]
	v_add_f64 v[124:125], v[4:5], v[144:145]
	v_fma_f64 v[4:5], v[156:157], s[14:15], -v[6:7]
	v_add_f64 v[126:127], v[4:5], v[146:147]
	v_mul_f64 v[4:5], v[160:161], s[48:49]
	v_fma_f64 v[6:7], v[154:155], s[12:13], -v[4:5]
	v_add_f64 v[128:129], v[6:7], v[148:149]
	v_mul_f64 v[6:7], v[158:159], s[48:49]
	v_fmac_f64_e32 v[4:5], s[12:13], v[154:155]
	v_add_f64 v[132:133], v[4:5], v[0:1]
	v_fma_f64 v[0:1], v[156:157], s[12:13], -v[6:7]
	v_add_f64 v[134:135], v[0:1], v[152:153]
	v_mul_lo_u16_e32 v0, 17, v2
	s_movk_i32 s60, 0xf1
	v_lshlrev_b32_e32 v253, 4, v0
	v_mul_lo_u16_sdwa v0, v2, s60 dst_sel:DWORD dst_unused:UNUSED_PAD src0_sel:BYTE_0 src1_sel:DWORD
	v_lshrrev_b16_e32 v208, 12, v0
	v_mul_lo_u16_e32 v0, 17, v208
	v_sub_u16_e32 v0, v2, v0
	v_fma_f64 v[8:9], s[12:13], v[156:157], v[6:7]
	v_and_b32_e32 v209, 0xff, v0
	v_add_f64 v[74:75], v[74:75], v[10:11]
	v_add_f64 v[130:131], v[8:9], v[150:151]
	v_lshlrev_b32_e32 v0, 8, v209
	s_waitcnt lgkmcnt(0)
	; wave barrier
	ds_write_b128 v253, v[68:71]
	ds_write_b128 v253, v[72:75] offset:16
	ds_write_b128 v253, v[80:83] offset:32
	ds_write_b128 v253, v[88:91] offset:48
	ds_write_b128 v253, v[96:99] offset:64
	ds_write_b128 v253, v[104:107] offset:80
	ds_write_b128 v253, v[112:115] offset:96
	ds_write_b128 v253, v[120:123] offset:112
	ds_write_b128 v253, v[128:131] offset:128
	ds_write_b128 v253, v[132:135] offset:144
	ds_write_b128 v253, v[124:127] offset:160
	ds_write_b128 v253, v[116:119] offset:176
	ds_write_b128 v253, v[108:111] offset:192
	ds_write_b128 v253, v[100:103] offset:208
	ds_write_b128 v253, v[92:95] offset:224
	ds_write_b128 v253, v[84:87] offset:240
	ds_write_b128 v253, v[76:79] offset:256
	s_waitcnt lgkmcnt(0)
	; wave barrier
	s_waitcnt lgkmcnt(0)
	global_load_dwordx4 v[80:83], v0, s[10:11]
	global_load_dwordx4 v[76:79], v0, s[10:11] offset:16
	global_load_dwordx4 v[72:75], v0, s[10:11] offset:32
	;; [unrolled: 1-line block ×15, first 2 shown]
	ds_read_b128 v[136:139], v252
	ds_read_b128 v[132:135], v252 offset:816
	ds_read_b128 v[140:143], v252 offset:1632
	;; [unrolled: 1-line block ×16, first 2 shown]
	s_waitcnt lgkmcnt(0)
	; wave barrier
	s_waitcnt lgkmcnt(0)
	v_accvgpr_write_b32 a60, v64
	v_accvgpr_write_b32 a56, v60
	v_accvgpr_write_b32 a52, v56
	v_accvgpr_write_b32 a48, v52
	v_accvgpr_write_b32 a44, v48
	v_accvgpr_write_b32 a32, v40
	v_accvgpr_write_b32 a16, v24
	v_accvgpr_write_b32 a12, v20
	v_accvgpr_write_b32 a8, v16
	v_accvgpr_write_b32 a28, v32
	v_accvgpr_write_b32 a20, v28
	v_accvgpr_write_b32 a40, v44
	v_accvgpr_write_b32 a36, v36
	v_accvgpr_write_b32 a61, v65
	v_accvgpr_write_b32 a62, v66
	v_accvgpr_write_b32 a63, v67
	v_accvgpr_write_b32 a57, v61
	v_accvgpr_write_b32 a58, v62
	v_accvgpr_write_b32 a59, v63
	v_accvgpr_write_b32 a53, v57
	v_accvgpr_write_b32 a54, v58
	v_accvgpr_write_b32 a55, v59
	v_accvgpr_write_b32 a49, v53
	v_accvgpr_write_b32 a50, v54
	v_accvgpr_write_b32 a51, v55
	v_accvgpr_write_b32 a45, v49
	v_accvgpr_write_b32 a46, v50
	v_accvgpr_write_b32 a47, v51
	v_accvgpr_write_b32 a33, v41
	v_accvgpr_write_b32 a34, v42
	v_accvgpr_write_b32 a35, v43
	v_accvgpr_write_b32 a17, v25
	v_accvgpr_write_b32 a18, v26
	v_accvgpr_write_b32 a19, v27
	v_accvgpr_write_b32 a13, v21
	v_accvgpr_write_b32 a14, v22
	v_accvgpr_write_b32 a15, v23
	v_accvgpr_write_b32 a9, v17
	v_accvgpr_write_b32 a10, v18
	v_accvgpr_write_b32 a11, v19
	v_accvgpr_write_b32 a29, v33
	v_accvgpr_write_b32 a30, v34
	v_accvgpr_write_b32 a31, v35
	v_accvgpr_write_b32 a21, v29
	v_accvgpr_write_b32 a22, v30
	v_accvgpr_write_b32 a23, v31
	v_accvgpr_write_b32 a41, v45
	v_accvgpr_write_b32 a42, v46
	v_accvgpr_write_b32 a43, v47
	v_accvgpr_write_b32 a37, v37
	v_accvgpr_write_b32 a38, v38
	v_accvgpr_write_b32 a39, v39
	v_cmp_gt_u16_e32 vcc, 34, v2
	s_waitcnt vmcnt(15)
	v_mul_f64 v[0:1], v[134:135], v[82:83]
	v_fma_f64 v[4:5], v[132:133], v[80:81], -v[0:1]
	v_mul_f64 v[6:7], v[132:133], v[82:83]
	s_waitcnt vmcnt(14)
	v_mul_f64 v[0:1], v[142:143], v[78:79]
	v_fmac_f64_e32 v[6:7], v[134:135], v[80:81]
	v_fma_f64 v[188:189], v[140:141], v[76:77], -v[0:1]
	v_mul_f64 v[186:187], v[140:141], v[78:79]
	s_waitcnt vmcnt(13)
	v_mul_f64 v[0:1], v[146:147], v[74:75]
	v_fmac_f64_e32 v[186:187], v[142:143], v[76:77]
	v_fma_f64 v[180:181], v[144:145], v[72:73], -v[0:1]
	v_mul_f64 v[178:179], v[144:145], v[74:75]
	s_waitcnt vmcnt(12)
	v_mul_f64 v[0:1], v[150:151], v[70:71]
	v_add_f64 v[12:13], v[136:137], v[4:5]
	v_add_f64 v[14:15], v[138:139], v[6:7]
	v_fmac_f64_e32 v[178:179], v[146:147], v[72:73]
	v_fma_f64 v[172:173], v[148:149], v[68:69], -v[0:1]
	v_mul_f64 v[170:171], v[148:149], v[70:71]
	s_waitcnt vmcnt(11)
	v_mul_f64 v[0:1], v[154:155], v[98:99]
	v_add_f64 v[12:13], v[12:13], v[188:189]
	v_add_f64 v[14:15], v[14:15], v[186:187]
	;; [unrolled: 7-line block ×5, first 2 shown]
	v_fmac_f64_e32 v[146:147], v[168:169], v[88:89]
	v_fma_f64 v[140:141], v[174:175], v[84:85], -v[0:1]
	v_mul_f64 v[0:1], v[174:175], v[86:87]
	v_add_f64 v[12:13], v[12:13], v[156:157]
	v_add_f64 v[14:15], v[14:15], v[154:155]
	v_fmac_f64_e32 v[0:1], v[176:177], v[84:85]
	s_waitcnt vmcnt(7)
	v_mul_f64 v[8:9], v[184:185], v[114:115]
	v_mul_f64 v[142:143], v[182:183], v[114:115]
	v_add_f64 v[12:13], v[12:13], v[148:149]
	v_add_f64 v[14:15], v[14:15], v[146:147]
	v_fma_f64 v[144:145], v[182:183], v[112:113], -v[8:9]
	v_fmac_f64_e32 v[142:143], v[184:185], v[112:113]
	s_waitcnt vmcnt(6)
	v_mul_f64 v[8:9], v[192:193], v[110:111]
	v_mul_f64 v[150:151], v[190:191], v[110:111]
	v_add_f64 v[12:13], v[12:13], v[140:141]
	v_add_f64 v[14:15], v[14:15], v[0:1]
	v_fma_f64 v[152:153], v[190:191], v[108:109], -v[8:9]
	;; [unrolled: 7-line block ×8, first 2 shown]
	v_fmac_f64_e32 v[10:11], v[220:221], v[116:117]
	v_add_f64 v[12:13], v[12:13], v[192:193]
	v_add_f64 v[14:15], v[14:15], v[190:191]
	;; [unrolled: 1-line block ×6, first 2 shown]
	v_add_f64 v[4:5], v[4:5], -v[8:9]
	v_add_f64 v[6:7], v[6:7], -v[10:11]
	v_mul_f64 v[8:9], v[6:7], s[38:39]
	v_mul_f64 v[194:195], v[4:5], s[38:39]
	;; [unrolled: 1-line block ×16, first 2 shown]
	v_fma_f64 v[10:11], v[12:13], s[26:27], -v[8:9]
	v_fmac_f64_e32 v[8:9], s[26:27], v[12:13]
	v_fma_f64 v[198:199], v[12:13], s[22:23], -v[196:197]
	v_fmac_f64_e32 v[196:197], s[22:23], v[12:13]
	;; [unrolled: 2-line block ×8, first 2 shown]
	v_fma_f64 v[12:13], s[26:27], v[14:15], v[194:195]
	v_fma_f64 v[194:195], v[14:15], s[26:27], -v[194:195]
	v_fma_f64 v[226:227], s[22:23], v[14:15], v[224:225]
	v_fma_f64 v[224:225], v[14:15], s[22:23], -v[224:225]
	;; [unrolled: 2-line block ×8, first 2 shown]
	v_add_f64 v[10:11], v[136:137], v[10:11]
	v_add_f64 v[12:13], v[138:139], v[12:13]
	;; [unrolled: 1-line block ×33, first 2 shown]
	v_add_f64 v[138:139], v[188:189], -v[192:193]
	v_add_f64 v[188:189], v[186:187], v[190:191]
	v_add_f64 v[186:187], v[186:187], -v[190:191]
	v_mul_f64 v[190:191], v[186:187], s[50:51]
	v_fma_f64 v[192:193], v[136:137], s[22:23], -v[190:191]
	v_add_f64 v[10:11], v[192:193], v[10:11]
	v_mul_f64 v[192:193], v[138:139], s[50:51]
	v_fmac_f64_e32 v[190:191], s[22:23], v[136:137]
	v_add_f64 v[8:9], v[190:191], v[8:9]
	v_fma_f64 v[190:191], v[188:189], s[22:23], -v[192:193]
	v_add_f64 v[14:15], v[190:191], v[14:15]
	v_mul_f64 v[190:191], v[186:187], s[42:43]
	v_fma_f64 v[248:249], s[22:23], v[188:189], v[192:193]
	v_fma_f64 v[192:193], v[136:137], s[12:13], -v[190:191]
	v_add_f64 v[192:193], v[192:193], v[194:195]
	v_mul_f64 v[194:195], v[138:139], s[42:43]
	v_fmac_f64_e32 v[190:191], s[12:13], v[136:137]
	v_add_f64 v[12:13], v[248:249], v[12:13]
	v_fma_f64 v[248:249], s[12:13], v[188:189], v[194:195]
	v_add_f64 v[190:191], v[190:191], v[196:197]
	v_fma_f64 v[194:195], v[188:189], s[12:13], -v[194:195]
	v_mul_f64 v[196:197], v[186:187], s[24:25]
	v_add_f64 v[194:195], v[194:195], v[224:225]
	v_fma_f64 v[224:225], v[136:137], s[20:21], -v[196:197]
	v_add_f64 v[202:203], v[224:225], v[202:203]
	v_mul_f64 v[224:225], v[138:139], s[24:25]
	v_fmac_f64_e32 v[196:197], s[20:21], v[136:137]
	v_add_f64 v[198:199], v[248:249], v[198:199]
	v_fma_f64 v[248:249], s[20:21], v[188:189], v[224:225]
	v_add_f64 v[196:197], v[196:197], v[200:201]
	v_fma_f64 v[200:201], v[188:189], s[20:21], -v[224:225]
	v_mul_f64 v[224:225], v[186:187], s[40:41]
	v_add_f64 v[200:201], v[200:201], v[228:229]
	;; [unrolled: 10-line block ×5, first 2 shown]
	v_fma_f64 v[240:241], v[136:137], s[18:19], -v[236:237]
	v_add_f64 v[220:221], v[240:241], v[220:221]
	v_mul_f64 v[240:241], v[138:139], s[28:29]
	v_fmac_f64_e32 v[236:237], s[18:19], v[136:137]
	v_mul_f64 v[186:187], v[186:187], s[44:45]
	v_mul_f64 v[138:139], v[138:139], s[44:45]
	v_add_f64 v[238:239], v[248:249], v[238:239]
	v_fma_f64 v[248:249], s[18:19], v[188:189], v[240:241]
	v_add_f64 v[218:219], v[236:237], v[218:219]
	v_fma_f64 v[236:237], v[188:189], s[18:19], -v[240:241]
	v_fma_f64 v[240:241], v[136:137], s[26:27], -v[186:187]
	v_fmac_f64_e32 v[186:187], s[26:27], v[136:137]
	v_fma_f64 v[136:137], v[188:189], s[26:27], -v[138:139]
	v_add_f64 v[222:223], v[240:241], v[222:223]
	v_fma_f64 v[240:241], s[26:27], v[188:189], v[138:139]
	v_add_f64 v[4:5], v[136:137], v[4:5]
	v_add_f64 v[136:137], v[180:181], v[184:185]
	v_add_f64 v[138:139], v[180:181], -v[184:185]
	v_add_f64 v[180:181], v[178:179], v[182:183]
	v_add_f64 v[178:179], v[178:179], -v[182:183]
	v_mul_f64 v[182:183], v[178:179], s[2:3]
	v_fma_f64 v[184:185], v[136:137], s[18:19], -v[182:183]
	v_add_f64 v[10:11], v[184:185], v[10:11]
	v_mul_f64 v[184:185], v[138:139], s[2:3]
	v_fmac_f64_e32 v[182:183], s[18:19], v[136:137]
	v_add_f64 v[8:9], v[182:183], v[8:9]
	v_fma_f64 v[182:183], v[180:181], s[18:19], -v[184:185]
	v_add_f64 v[6:7], v[186:187], v[6:7]
	v_fma_f64 v[186:187], s[18:19], v[180:181], v[184:185]
	v_add_f64 v[14:15], v[182:183], v[14:15]
	v_mul_f64 v[182:183], v[178:179], s[24:25]
	v_add_f64 v[12:13], v[186:187], v[12:13]
	v_fma_f64 v[184:185], v[136:137], s[20:21], -v[182:183]
	v_mul_f64 v[186:187], v[138:139], s[24:25]
	v_fmac_f64_e32 v[182:183], s[20:21], v[136:137]
	v_fma_f64 v[188:189], s[20:21], v[180:181], v[186:187]
	v_add_f64 v[182:183], v[182:183], v[190:191]
	v_fma_f64 v[186:187], v[180:181], s[20:21], -v[186:187]
	v_mul_f64 v[190:191], v[178:179], s[58:59]
	v_add_f64 v[184:185], v[184:185], v[192:193]
	v_add_f64 v[186:187], v[186:187], v[194:195]
	v_fma_f64 v[192:193], v[136:137], s[36:37], -v[190:191]
	v_mul_f64 v[194:195], v[138:139], s[58:59]
	v_fmac_f64_e32 v[190:191], s[36:37], v[136:137]
	v_add_f64 v[188:189], v[188:189], v[198:199]
	v_fma_f64 v[198:199], s[36:37], v[180:181], v[194:195]
	v_add_f64 v[190:191], v[190:191], v[196:197]
	v_fma_f64 v[194:195], v[180:181], s[36:37], -v[194:195]
	v_mul_f64 v[196:197], v[178:179], s[52:53]
	v_add_f64 v[192:193], v[192:193], v[202:203]
	v_add_f64 v[194:195], v[194:195], v[200:201]
	v_fma_f64 v[200:201], v[136:137], s[14:15], -v[196:197]
	v_mul_f64 v[202:203], v[138:139], s[52:53]
	v_fmac_f64_e32 v[196:197], s[14:15], v[136:137]
	v_add_f64 v[200:201], v[200:201], v[206:207]
	v_fma_f64 v[206:207], s[14:15], v[180:181], v[202:203]
	v_add_f64 v[196:197], v[196:197], v[204:205]
	v_fma_f64 v[202:203], v[180:181], s[14:15], -v[202:203]
	v_mul_f64 v[204:205], v[178:179], s[46:47]
	v_add_f64 v[202:203], v[202:203], v[224:225]
	v_fma_f64 v[224:225], v[136:137], s[22:23], -v[204:205]
	v_add_f64 v[212:213], v[224:225], v[212:213]
	v_mul_f64 v[224:225], v[138:139], s[46:47]
	v_fmac_f64_e32 v[204:205], s[22:23], v[136:137]
	v_add_f64 v[198:199], v[198:199], v[226:227]
	v_fma_f64 v[226:227], s[22:23], v[180:181], v[224:225]
	v_add_f64 v[204:205], v[204:205], v[210:211]
	v_fma_f64 v[210:211], v[180:181], s[22:23], -v[224:225]
	v_mul_f64 v[224:225], v[178:179], s[38:39]
	v_add_f64 v[210:211], v[210:211], v[228:229]
	v_fma_f64 v[228:229], v[136:137], s[26:27], -v[224:225]
	v_add_f64 v[216:217], v[228:229], v[216:217]
	;; [unrolled: 10-line block ×3, first 2 shown]
	v_mul_f64 v[232:233], v[138:139], s[42:43]
	v_fmac_f64_e32 v[228:229], s[12:13], v[136:137]
	v_mul_f64 v[178:179], v[178:179], s[34:35]
	v_mul_f64 v[138:139], v[138:139], s[34:35]
	v_add_f64 v[226:227], v[226:227], v[234:235]
	v_fma_f64 v[234:235], s[12:13], v[180:181], v[232:233]
	v_add_f64 v[218:219], v[228:229], v[218:219]
	v_fma_f64 v[228:229], v[180:181], s[12:13], -v[232:233]
	v_fma_f64 v[232:233], v[136:137], s[30:31], -v[178:179]
	v_fmac_f64_e32 v[178:179], s[30:31], v[136:137]
	v_fma_f64 v[136:137], v[180:181], s[30:31], -v[138:139]
	v_add_f64 v[222:223], v[232:233], v[222:223]
	v_fma_f64 v[232:233], s[30:31], v[180:181], v[138:139]
	v_add_f64 v[4:5], v[136:137], v[4:5]
	v_add_f64 v[136:137], v[172:173], v[176:177]
	v_add_f64 v[138:139], v[172:173], -v[176:177]
	v_add_f64 v[172:173], v[170:171], v[174:175]
	v_add_f64 v[170:171], v[170:171], -v[174:175]
	v_mul_f64 v[174:175], v[170:171], s[42:43]
	v_fma_f64 v[176:177], v[136:137], s[12:13], -v[174:175]
	v_add_f64 v[10:11], v[176:177], v[10:11]
	v_mul_f64 v[176:177], v[138:139], s[42:43]
	v_fmac_f64_e32 v[174:175], s[12:13], v[136:137]
	v_add_f64 v[8:9], v[174:175], v[8:9]
	v_fma_f64 v[174:175], v[172:173], s[12:13], -v[176:177]
	v_add_f64 v[6:7], v[178:179], v[6:7]
	v_fma_f64 v[178:179], s[12:13], v[172:173], v[176:177]
	v_add_f64 v[14:15], v[174:175], v[14:15]
	v_mul_f64 v[174:175], v[170:171], s[40:41]
	v_add_f64 v[12:13], v[178:179], v[12:13]
	v_fma_f64 v[176:177], v[136:137], s[36:37], -v[174:175]
	v_mul_f64 v[178:179], v[138:139], s[40:41]
	v_fmac_f64_e32 v[174:175], s[36:37], v[136:137]
	v_fma_f64 v[180:181], s[36:37], v[172:173], v[178:179]
	v_add_f64 v[174:175], v[174:175], v[182:183]
	v_fma_f64 v[178:179], v[172:173], s[36:37], -v[178:179]
	v_mul_f64 v[182:183], v[170:171], s[52:53]
	v_add_f64 v[176:177], v[176:177], v[184:185]
	v_add_f64 v[178:179], v[178:179], v[186:187]
	v_fma_f64 v[184:185], v[136:137], s[14:15], -v[182:183]
	v_mul_f64 v[186:187], v[138:139], s[52:53]
	v_fmac_f64_e32 v[182:183], s[14:15], v[136:137]
	v_add_f64 v[180:181], v[180:181], v[188:189]
	v_fma_f64 v[188:189], s[14:15], v[172:173], v[186:187]
	v_add_f64 v[182:183], v[182:183], v[190:191]
	v_fma_f64 v[186:187], v[172:173], s[14:15], -v[186:187]
	v_mul_f64 v[190:191], v[170:171], s[44:45]
	v_add_f64 v[184:185], v[184:185], v[192:193]
	v_add_f64 v[186:187], v[186:187], v[194:195]
	v_fma_f64 v[192:193], v[136:137], s[26:27], -v[190:191]
	v_mul_f64 v[194:195], v[138:139], s[44:45]
	v_fmac_f64_e32 v[190:191], s[26:27], v[136:137]
	v_add_f64 v[188:189], v[188:189], v[198:199]
	;; [unrolled: 10-line block ×4, first 2 shown]
	v_fma_f64 v[216:217], s[30:31], v[172:173], v[212:213]
	v_add_f64 v[204:205], v[204:205], v[214:215]
	v_fma_f64 v[212:213], v[172:173], s[30:31], -v[212:213]
	v_mul_f64 v[214:215], v[170:171], s[56:57]
	v_add_f64 v[212:213], v[212:213], v[224:225]
	v_fma_f64 v[224:225], v[136:137], s[20:21], -v[214:215]
	v_add_f64 v[220:221], v[224:225], v[220:221]
	v_mul_f64 v[224:225], v[138:139], s[56:57]
	v_fmac_f64_e32 v[214:215], s[20:21], v[136:137]
	v_mul_f64 v[170:171], v[170:171], s[46:47]
	v_add_f64 v[206:207], v[206:207], v[226:227]
	v_fma_f64 v[226:227], s[20:21], v[172:173], v[224:225]
	v_add_f64 v[214:215], v[214:215], v[218:219]
	v_fma_f64 v[218:219], v[172:173], s[20:21], -v[224:225]
	v_fma_f64 v[224:225], v[136:137], s[22:23], -v[170:171]
	v_mul_f64 v[138:139], v[138:139], s[46:47]
	v_add_f64 v[222:223], v[224:225], v[222:223]
	v_fma_f64 v[224:225], s[22:23], v[172:173], v[138:139]
	v_fmac_f64_e32 v[170:171], s[22:23], v[136:137]
	v_fma_f64 v[136:137], v[172:173], s[22:23], -v[138:139]
	v_add_f64 v[138:139], v[162:163], v[166:167]
	v_add_f64 v[162:163], v[162:163], -v[166:167]
	v_add_f64 v[4:5], v[136:137], v[4:5]
	v_add_f64 v[136:137], v[164:165], v[168:169]
	v_mul_f64 v[166:167], v[162:163], s[16:17]
	v_add_f64 v[164:165], v[164:165], -v[168:169]
	v_fma_f64 v[168:169], v[136:137], s[14:15], -v[166:167]
	v_add_f64 v[10:11], v[168:169], v[10:11]
	v_mul_f64 v[168:169], v[164:165], s[16:17]
	v_fmac_f64_e32 v[166:167], s[14:15], v[136:137]
	v_add_f64 v[6:7], v[170:171], v[6:7]
	v_fma_f64 v[170:171], s[14:15], v[138:139], v[168:169]
	v_add_f64 v[8:9], v[166:167], v[8:9]
	v_fma_f64 v[166:167], v[138:139], s[14:15], -v[168:169]
	v_add_f64 v[12:13], v[170:171], v[12:13]
	v_add_f64 v[14:15], v[166:167], v[14:15]
	v_mul_f64 v[166:167], v[162:163], s[54:55]
	v_mul_f64 v[170:171], v[164:165], s[54:55]
	v_fma_f64 v[168:169], v[136:137], s[30:31], -v[166:167]
	v_fma_f64 v[172:173], s[30:31], v[138:139], v[170:171]
	v_fmac_f64_e32 v[166:167], s[30:31], v[136:137]
	v_fma_f64 v[170:171], v[138:139], s[30:31], -v[170:171]
	v_add_f64 v[166:167], v[166:167], v[174:175]
	v_add_f64 v[170:171], v[170:171], v[178:179]
	v_mul_f64 v[174:175], v[162:163], s[46:47]
	v_mul_f64 v[178:179], v[164:165], s[46:47]
	v_add_f64 v[168:169], v[168:169], v[176:177]
	v_add_f64 v[172:173], v[172:173], v[180:181]
	v_fma_f64 v[176:177], v[136:137], s[22:23], -v[174:175]
	v_fma_f64 v[180:181], s[22:23], v[138:139], v[178:179]
	v_fmac_f64_e32 v[174:175], s[22:23], v[136:137]
	v_fma_f64 v[178:179], v[138:139], s[22:23], -v[178:179]
	v_add_f64 v[174:175], v[174:175], v[182:183]
	v_add_f64 v[178:179], v[178:179], v[186:187]
	v_mul_f64 v[182:183], v[162:163], s[2:3]
	v_mul_f64 v[186:187], v[164:165], s[2:3]
	v_add_f64 v[176:177], v[176:177], v[184:185]
	v_add_f64 v[180:181], v[180:181], v[188:189]
	;; [unrolled: 10-line block ×4, first 2 shown]
	v_add_f64 v[192:193], v[192:193], v[200:201]
	v_add_f64 v[198:199], v[198:199], v[206:207]
	v_fma_f64 v[200:201], v[136:137], s[12:13], -v[196:197]
	v_fma_f64 v[206:207], s[12:13], v[138:139], v[202:203]
	v_fmac_f64_e32 v[196:197], s[12:13], v[136:137]
	v_fma_f64 v[202:203], v[138:139], s[12:13], -v[202:203]
	v_add_f64 v[228:229], v[228:229], v[236:237]
	v_add_f64 v[216:217], v[216:217], v[230:231]
	;; [unrolled: 1-line block ×4, first 2 shown]
	v_mul_f64 v[204:205], v[162:163], s[38:39]
	v_mul_f64 v[212:213], v[164:165], s[38:39]
	v_add_f64 v[218:219], v[218:219], v[228:229]
	v_add_f64 v[200:201], v[200:201], v[210:211]
	;; [unrolled: 1-line block ×3, first 2 shown]
	v_fma_f64 v[210:211], v[136:137], s[26:27], -v[204:205]
	v_fma_f64 v[216:217], s[26:27], v[138:139], v[212:213]
	v_fmac_f64_e32 v[204:205], s[26:27], v[136:137]
	v_fma_f64 v[212:213], v[138:139], s[26:27], -v[212:213]
	v_mul_f64 v[162:163], v[162:163], s[24:25]
	v_mul_f64 v[164:165], v[164:165], s[24:25]
	v_add_f64 v[204:205], v[204:205], v[214:215]
	v_add_f64 v[212:213], v[212:213], v[218:219]
	v_fma_f64 v[214:215], v[136:137], s[20:21], -v[162:163]
	v_fma_f64 v[218:219], s[20:21], v[138:139], v[164:165]
	v_fmac_f64_e32 v[162:163], s[20:21], v[136:137]
	v_fma_f64 v[136:137], v[138:139], s[20:21], -v[164:165]
	v_add_f64 v[138:139], v[154:155], v[158:159]
	v_add_f64 v[154:155], v[154:155], -v[158:159]
	v_add_f64 v[4:5], v[136:137], v[4:5]
	v_add_f64 v[136:137], v[156:157], v[160:161]
	v_mul_f64 v[158:159], v[154:155], s[24:25]
	v_add_f64 v[156:157], v[156:157], -v[160:161]
	v_fma_f64 v[160:161], v[136:137], s[20:21], -v[158:159]
	v_add_f64 v[10:11], v[160:161], v[10:11]
	v_mul_f64 v[160:161], v[156:157], s[24:25]
	v_fmac_f64_e32 v[158:159], s[20:21], v[136:137]
	v_add_f64 v[8:9], v[158:159], v[8:9]
	v_fma_f64 v[158:159], v[138:139], s[20:21], -v[160:161]
	v_add_f64 v[14:15], v[158:159], v[14:15]
	v_mul_f64 v[158:159], v[154:155], s[52:53]
	v_add_f64 v[6:7], v[162:163], v[6:7]
	v_fma_f64 v[162:163], s[20:21], v[138:139], v[160:161]
	v_fma_f64 v[160:161], v[136:137], s[14:15], -v[158:159]
	v_fmac_f64_e32 v[158:159], s[14:15], v[136:137]
	v_add_f64 v[12:13], v[162:163], v[12:13]
	v_mul_f64 v[162:163], v[156:157], s[52:53]
	v_add_f64 v[158:159], v[158:159], v[166:167]
	v_mul_f64 v[166:167], v[154:155], s[38:39]
	v_add_f64 v[160:161], v[160:161], v[168:169]
	v_fma_f64 v[164:165], s[14:15], v[138:139], v[162:163]
	v_fma_f64 v[162:163], v[138:139], s[14:15], -v[162:163]
	v_fma_f64 v[168:169], v[136:137], s[26:27], -v[166:167]
	v_fmac_f64_e32 v[166:167], s[26:27], v[136:137]
	v_add_f64 v[162:163], v[162:163], v[170:171]
	v_mul_f64 v[170:171], v[156:157], s[38:39]
	v_add_f64 v[166:167], v[166:167], v[174:175]
	v_mul_f64 v[174:175], v[154:155], s[34:35]
	v_add_f64 v[164:165], v[164:165], v[172:173]
	v_add_f64 v[168:169], v[168:169], v[176:177]
	v_fma_f64 v[172:173], s[26:27], v[138:139], v[170:171]
	v_fma_f64 v[170:171], v[138:139], s[26:27], -v[170:171]
	v_fma_f64 v[176:177], v[136:137], s[30:31], -v[174:175]
	v_fmac_f64_e32 v[174:175], s[30:31], v[136:137]
	v_add_f64 v[170:171], v[170:171], v[178:179]
	v_mul_f64 v[178:179], v[156:157], s[34:35]
	v_add_f64 v[174:175], v[174:175], v[182:183]
	v_mul_f64 v[182:183], v[154:155], s[48:49]
	v_add_f64 v[172:173], v[172:173], v[180:181]
	v_add_f64 v[176:177], v[176:177], v[184:185]
	v_fma_f64 v[180:181], s[30:31], v[138:139], v[178:179]
	v_fma_f64 v[184:185], v[136:137], s[12:13], -v[182:183]
	v_add_f64 v[180:181], v[180:181], v[188:189]
	v_fma_f64 v[178:179], v[138:139], s[30:31], -v[178:179]
	v_add_f64 v[188:189], v[184:185], v[192:193]
	v_mul_f64 v[184:185], v[156:157], s[48:49]
	v_add_f64 v[178:179], v[178:179], v[186:187]
	v_fma_f64 v[186:187], s[12:13], v[138:139], v[184:185]
	v_fmac_f64_e32 v[182:183], s[12:13], v[136:137]
	v_fma_f64 v[184:185], v[138:139], s[12:13], -v[184:185]
	v_add_f64 v[182:183], v[182:183], v[190:191]
	v_add_f64 v[190:191], v[184:185], v[194:195]
	v_mul_f64 v[184:185], v[154:155], s[50:51]
	v_add_f64 v[192:193], v[186:187], v[198:199]
	v_fma_f64 v[186:187], v[136:137], s[22:23], -v[184:185]
	v_add_f64 v[194:195], v[186:187], v[200:201]
	v_mul_f64 v[186:187], v[156:157], s[50:51]
	v_fmac_f64_e32 v[184:185], s[22:23], v[136:137]
	v_add_f64 v[196:197], v[184:185], v[196:197]
	v_fma_f64 v[184:185], v[138:139], s[22:23], -v[186:187]
	v_add_f64 v[210:211], v[210:211], v[220:221]
	v_add_f64 v[220:221], v[184:185], v[202:203]
	v_mul_f64 v[184:185], v[154:155], s[40:41]
	v_add_f64 v[242:243], v[248:249], v[242:243]
	v_fma_f64 v[198:199], s[22:23], v[138:139], v[186:187]
	v_fma_f64 v[186:187], v[136:137], s[36:37], -v[184:185]
	v_add_f64 v[234:235], v[234:235], v[242:243]
	v_add_f64 v[210:211], v[186:187], v[210:211]
	v_mul_f64 v[186:187], v[156:157], s[40:41]
	v_fmac_f64_e32 v[184:185], s[36:37], v[136:137]
	v_add_f64 v[240:241], v[240:241], v[246:247]
	v_add_f64 v[226:227], v[226:227], v[234:235]
	;; [unrolled: 1-line block ×4, first 2 shown]
	v_fma_f64 v[184:185], v[138:139], s[36:37], -v[186:187]
	v_mul_f64 v[154:155], v[154:155], s[28:29]
	v_mul_f64 v[156:157], v[156:157], s[28:29]
	v_add_f64 v[232:233], v[232:233], v[240:241]
	v_add_f64 v[216:217], v[216:217], v[226:227]
	;; [unrolled: 1-line block ×3, first 2 shown]
	v_fma_f64 v[184:185], v[136:137], s[18:19], -v[154:155]
	v_fmac_f64_e32 v[154:155], s[18:19], v[136:137]
	v_fma_f64 v[136:137], v[138:139], s[18:19], -v[156:157]
	v_add_f64 v[226:227], v[146:147], -v[150:151]
	v_add_f64 v[224:225], v[224:225], v[232:233]
	v_fma_f64 v[200:201], s[36:37], v[138:139], v[186:187]
	v_add_f64 v[214:215], v[184:185], v[214:215]
	v_fma_f64 v[184:185], s[18:19], v[138:139], v[156:157]
	v_add_f64 v[4:5], v[136:137], v[4:5]
	v_add_f64 v[136:137], v[148:149], v[152:153]
	;; [unrolled: 1-line block ×3, first 2 shown]
	v_mul_f64 v[146:147], v[226:227], s[34:35]
	v_add_f64 v[218:219], v[218:219], v[224:225]
	v_add_f64 v[224:225], v[148:149], -v[152:153]
	v_fma_f64 v[148:149], v[136:137], s[30:31], -v[146:147]
	v_add_f64 v[10:11], v[148:149], v[10:11]
	v_mul_f64 v[148:149], v[224:225], s[34:35]
	v_fmac_f64_e32 v[146:147], s[30:31], v[136:137]
	v_add_f64 v[8:9], v[146:147], v[8:9]
	v_fma_f64 v[146:147], v[138:139], s[30:31], -v[148:149]
	v_add_f64 v[14:15], v[146:147], v[14:15]
	v_mul_f64 v[146:147], v[226:227], s[28:29]
	v_fma_f64 v[150:151], s[30:31], v[138:139], v[148:149]
	v_fma_f64 v[148:149], v[136:137], s[18:19], -v[146:147]
	v_add_f64 v[228:229], v[148:149], v[160:161]
	v_mul_f64 v[148:149], v[224:225], s[28:29]
	v_fmac_f64_e32 v[146:147], s[18:19], v[136:137]
	v_add_f64 v[218:219], v[184:185], v[218:219]
	v_add_f64 v[184:185], v[146:147], v[158:159]
	v_fma_f64 v[146:147], v[138:139], s[18:19], -v[148:149]
	v_add_f64 v[186:187], v[146:147], v[162:163]
	v_mul_f64 v[146:147], v[226:227], s[42:43]
	v_add_f64 v[12:13], v[150:151], v[12:13]
	v_fma_f64 v[150:151], s[18:19], v[138:139], v[148:149]
	v_fma_f64 v[148:149], v[136:137], s[12:13], -v[146:147]
	v_mul_f64 v[152:153], v[224:225], s[42:43]
	v_fmac_f64_e32 v[146:147], s[12:13], v[136:137]
	v_add_f64 v[198:199], v[198:199], v[206:207]
	v_add_f64 v[148:149], v[148:149], v[168:169]
	;; [unrolled: 1-line block ×3, first 2 shown]
	v_fma_f64 v[146:147], v[138:139], s[12:13], -v[152:153]
	v_mul_f64 v[168:169], v[226:227], s[40:41]
	v_add_f64 v[146:147], v[146:147], v[170:171]
	v_fma_f64 v[170:171], v[136:137], s[36:37], -v[168:169]
	v_add_f64 v[230:231], v[150:151], v[164:165]
	v_fma_f64 v[150:151], s[12:13], v[138:139], v[152:153]
	v_add_f64 v[204:205], v[170:171], v[194:195]
	v_mul_f64 v[170:171], v[224:225], s[40:41]
	v_fmac_f64_e32 v[168:169], s[36:37], v[136:137]
	v_add_f64 v[216:217], v[200:201], v[216:217]
	v_add_f64 v[150:151], v[150:151], v[172:173]
	v_mul_f64 v[152:153], v[226:227], s[56:57]
	v_fma_f64 v[172:173], s[36:37], v[138:139], v[170:171]
	v_add_f64 v[200:201], v[168:169], v[196:197]
	v_fma_f64 v[168:169], v[138:139], s[36:37], -v[170:171]
	v_add_f64 v[6:7], v[154:155], v[6:7]
	v_fma_f64 v[154:155], v[136:137], s[20:21], -v[152:153]
	v_add_f64 v[202:203], v[172:173], v[198:199]
	v_add_f64 v[198:199], v[168:169], v[220:221]
	v_mul_f64 v[168:169], v[226:227], s[46:47]
	v_add_f64 v[156:157], v[154:155], v[176:177]
	v_mul_f64 v[154:155], v[224:225], s[56:57]
	v_fma_f64 v[170:171], v[136:137], s[22:23], -v[168:169]
	v_fma_f64 v[158:159], s[20:21], v[138:139], v[154:155]
	v_fma_f64 v[154:155], v[138:139], s[20:21], -v[154:155]
	v_add_f64 v[194:195], v[170:171], v[210:211]
	v_mul_f64 v[170:171], v[224:225], s[46:47]
	v_fmac_f64_e32 v[168:169], s[22:23], v[136:137]
	v_add_f64 v[154:155], v[154:155], v[178:179]
	v_mul_f64 v[160:161], v[226:227], s[38:39]
	v_add_f64 v[178:179], v[168:169], v[222:223]
	v_fma_f64 v[168:169], v[138:139], s[22:23], -v[170:171]
	v_fma_f64 v[162:163], v[136:137], s[26:27], -v[160:161]
	v_add_f64 v[176:177], v[168:169], v[212:213]
	v_mul_f64 v[168:169], v[226:227], s[16:17]
	v_add_f64 v[158:159], v[158:159], v[180:181]
	v_fmac_f64_e32 v[152:153], s[20:21], v[136:137]
	v_add_f64 v[164:165], v[162:163], v[188:189]
	v_mul_f64 v[162:163], v[224:225], s[38:39]
	v_fma_f64 v[172:173], s[22:23], v[138:139], v[170:171]
	v_fma_f64 v[170:171], v[136:137], s[14:15], -v[168:169]
	v_mul_f64 v[180:181], v[224:225], s[16:17]
	v_add_f64 v[152:153], v[152:153], v[174:175]
	v_fma_f64 v[166:167], s[26:27], v[138:139], v[162:163]
	v_add_f64 v[174:175], v[170:171], v[214:215]
	v_fma_f64 v[170:171], s[14:15], v[138:139], v[180:181]
	v_fmac_f64_e32 v[168:169], s[14:15], v[136:137]
	v_add_f64 v[166:167], v[166:167], v[192:193]
	v_fma_f64 v[162:163], v[138:139], s[26:27], -v[162:163]
	v_add_f64 v[192:193], v[172:173], v[216:217]
	v_add_f64 v[172:173], v[170:171], v[218:219]
	;; [unrolled: 1-line block ×3, first 2 shown]
	v_fma_f64 v[6:7], v[138:139], s[14:15], -v[180:181]
	v_add_f64 v[188:189], v[0:1], v[142:143]
	v_add_f64 v[0:1], v[0:1], -v[142:143]
	v_add_f64 v[162:163], v[162:163], v[190:191]
	v_add_f64 v[168:169], v[6:7], v[4:5]
	;; [unrolled: 1-line block ×3, first 2 shown]
	v_mul_f64 v[4:5], v[0:1], s[40:41]
	v_add_f64 v[196:197], v[140:141], -v[144:145]
	v_fma_f64 v[6:7], v[190:191], s[36:37], -v[4:5]
	v_fmac_f64_e32 v[160:161], s[26:27], v[136:137]
	v_add_f64 v[136:137], v[6:7], v[10:11]
	v_mul_f64 v[6:7], v[196:197], s[40:41]
	v_fmac_f64_e32 v[4:5], s[36:37], v[190:191]
	v_add_f64 v[180:181], v[4:5], v[8:9]
	v_fma_f64 v[4:5], v[188:189], s[36:37], -v[6:7]
	v_add_f64 v[160:161], v[160:161], v[182:183]
	v_add_f64 v[182:183], v[4:5], v[14:15]
	v_mul_f64 v[4:5], v[0:1], s[44:45]
	v_fma_f64 v[10:11], s[36:37], v[188:189], v[6:7]
	v_fma_f64 v[6:7], v[190:191], s[26:27], -v[4:5]
	v_add_f64 v[140:141], v[6:7], v[228:229]
	v_mul_f64 v[6:7], v[196:197], s[44:45]
	v_fmac_f64_e32 v[4:5], s[26:27], v[190:191]
	v_add_f64 v[184:185], v[4:5], v[184:185]
	v_fma_f64 v[4:5], v[188:189], s[26:27], -v[6:7]
	v_add_f64 v[186:187], v[4:5], v[186:187]
	v_mul_f64 v[4:5], v[0:1], s[34:35]
	v_fma_f64 v[8:9], s[26:27], v[188:189], v[6:7]
	v_fma_f64 v[6:7], v[190:191], s[30:31], -v[4:5]
	v_add_f64 v[148:149], v[6:7], v[148:149]
	v_mul_f64 v[6:7], v[196:197], s[34:35]
	v_fmac_f64_e32 v[4:5], s[30:31], v[190:191]
	v_add_f64 v[144:145], v[4:5], v[206:207]
	v_fma_f64 v[4:5], v[188:189], s[30:31], -v[6:7]
	v_add_f64 v[146:147], v[4:5], v[146:147]
	v_mul_f64 v[4:5], v[0:1], s[46:47]
	v_add_f64 v[142:143], v[8:9], v[230:231]
	v_fma_f64 v[8:9], s[30:31], v[188:189], v[6:7]
	v_fma_f64 v[6:7], v[190:191], s[22:23], -v[4:5]
	v_add_f64 v[156:157], v[6:7], v[156:157]
	v_mul_f64 v[6:7], v[196:197], s[46:47]
	v_fmac_f64_e32 v[4:5], s[22:23], v[190:191]
	v_add_f64 v[152:153], v[4:5], v[152:153]
	v_fma_f64 v[4:5], v[188:189], s[22:23], -v[6:7]
	v_add_f64 v[154:155], v[4:5], v[154:155]
	v_mul_f64 v[4:5], v[0:1], s[24:25]
	v_add_f64 v[150:151], v[8:9], v[150:151]
	;; [unrolled: 10-line block ×3, first 2 shown]
	v_fma_f64 v[8:9], s[20:21], v[188:189], v[6:7]
	v_fma_f64 v[6:7], v[190:191], s[18:19], -v[4:5]
	v_add_f64 v[204:205], v[6:7], v[204:205]
	v_mul_f64 v[6:7], v[196:197], s[28:29]
	v_fmac_f64_e32 v[4:5], s[18:19], v[190:191]
	v_add_f64 v[166:167], v[8:9], v[166:167]
	v_fma_f64 v[8:9], s[18:19], v[188:189], v[6:7]
	v_add_f64 v[200:201], v[4:5], v[200:201]
	v_fma_f64 v[4:5], v[188:189], s[18:19], -v[6:7]
	v_add_f64 v[206:207], v[8:9], v[202:203]
	v_add_f64 v[202:203], v[4:5], v[198:199]
	v_mul_f64 v[4:5], v[0:1], s[16:17]
	v_fma_f64 v[6:7], v[190:191], s[14:15], -v[4:5]
	v_add_f64 v[210:211], v[6:7], v[194:195]
	v_mul_f64 v[6:7], v[196:197], s[16:17]
	v_fma_f64 v[8:9], s[14:15], v[188:189], v[6:7]
	v_fmac_f64_e32 v[4:5], s[14:15], v[190:191]
	v_add_f64 v[212:213], v[8:9], v[192:193]
	v_add_f64 v[192:193], v[4:5], v[178:179]
	v_fma_f64 v[4:5], v[188:189], s[14:15], -v[6:7]
	v_mul_f64 v[0:1], v[0:1], s[48:49]
	v_add_f64 v[194:195], v[4:5], v[176:177]
	v_fma_f64 v[4:5], v[190:191], s[12:13], -v[0:1]
	v_add_f64 v[174:175], v[4:5], v[174:175]
	v_mul_f64 v[4:5], v[196:197], s[48:49]
	v_fmac_f64_e32 v[0:1], s[12:13], v[190:191]
	v_fma_f64 v[6:7], s[12:13], v[188:189], v[4:5]
	v_add_f64 v[170:171], v[0:1], v[170:171]
	v_fma_f64 v[0:1], v[188:189], s[12:13], -v[4:5]
	v_add_f64 v[176:177], v[6:7], v[172:173]
	v_add_f64 v[172:173], v[0:1], v[168:169]
	v_mul_u32_u24_e32 v0, 0x121, v208
	v_add_lshl_u32 v255, v0, v209, 4
	v_add_f64 v[138:139], v[10:11], v[12:13]
	ds_write_b128 v255, v[132:135]
	ds_write_b128 v255, v[136:139] offset:272
	ds_write_b128 v255, v[140:143] offset:544
	;; [unrolled: 1-line block ×16, first 2 shown]
	s_waitcnt lgkmcnt(0)
	; wave barrier
	s_waitcnt lgkmcnt(0)
	ds_read_b128 v[204:207], v252
	ds_read_b128 v[200:203], v252 offset:816
	ds_read_b128 v[240:243], v252 offset:9248
	;; [unrolled: 1-line block ×14, first 2 shown]
	s_load_dwordx2 s[2:3], s[0:1], 0x38
                                        ; implicit-def: $vgpr244_vgpr245
	s_and_saveexec_b64 s[0:1], vcc
	s_cbranch_execz .LBB0_3
; %bb.2:
	ds_read_b128 v[184:187], v252 offset:4080
	ds_read_b128 v[180:183], v252 offset:8704
	;; [unrolled: 1-line block ×3, first 2 shown]
.LBB0_3:
	s_or_b64 exec, exec, s[0:1]
	v_lshlrev_b32_e32 v0, 5, v2
	v_mov_b32_e32 v1, 0
	s_mov_b64 s[0:1], 0xff
	v_lshl_add_u64 v[4:5], s[10:11], 0, v[0:1]
	s_mov_b64 s[12:13], 0x1100
	v_lshl_add_u64 v[132:133], v[2:3], 0, s[0:1]
	v_lshl_add_u64 v[6:7], v[4:5], 0, s[12:13]
	v_add_co_u32_e64 v4, s[0:1], s33, v4
	s_nop 1
	v_addc_co_u32_e64 v5, s[0:1], 0, v5, s[0:1]
	global_load_dwordx4 v[140:143], v[4:5], off offset:256
	global_load_dwordx4 v[144:147], v[6:7], off offset:16
	v_add_u32_e32 v4, 0x660, v0
	v_mov_b32_e32 v5, v1
	v_lshl_add_u64 v[4:5], s[10:11], 0, v[4:5]
	v_lshl_add_u64 v[6:7], v[4:5], 0, s[12:13]
	v_add_co_u32_e64 v4, s[0:1], s33, v4
	s_waitcnt vmcnt(0) lgkmcnt(0)
	v_mul_f64 v[8:9], v[242:243], v[146:147]
	v_addc_co_u32_e64 v5, s[0:1], 0, v5, s[0:1]
	global_load_dwordx4 v[148:151], v[4:5], off offset:256
	global_load_dwordx4 v[152:155], v[6:7], off offset:16
	v_add_u32_e32 v4, 0xcc0, v0
	v_mov_b32_e32 v5, v1
	v_lshl_add_u64 v[4:5], s[10:11], 0, v[4:5]
	v_lshl_add_u64 v[6:7], v[4:5], 0, s[12:13]
	v_add_co_u32_e64 v4, s[0:1], s33, v4
	v_mul_f64 v[10:11], v[240:241], v[146:147]
	s_nop 0
	v_addc_co_u32_e64 v5, s[0:1], 0, v5, s[0:1]
	global_load_dwordx4 v[156:159], v[4:5], off offset:256
	global_load_dwordx4 v[160:163], v[6:7], off offset:16
	v_add_u32_e32 v4, 0x1320, v0
	v_mov_b32_e32 v5, v1
	v_lshl_add_u64 v[4:5], s[10:11], 0, v[4:5]
	v_lshl_add_u64 v[6:7], v[4:5], 0, s[12:13]
	v_add_co_u32_e64 v4, s[0:1], s33, v4
	v_add_u32_e32 v0, 0x1980, v0
	s_nop 0
	v_addc_co_u32_e64 v5, s[0:1], 0, v5, s[0:1]
	global_load_dwordx4 v[164:167], v[4:5], off offset:256
	global_load_dwordx4 v[168:171], v[6:7], off offset:16
	v_lshl_add_u64 v[4:5], s[10:11], 0, v[0:1]
	v_lshl_add_u64 v[6:7], v[4:5], 0, s[12:13]
	v_add_co_u32_e64 v4, s[0:1], s33, v4
	v_fma_f64 v[8:9], v[240:241], v[144:145], -v[8:9]
	s_nop 0
	v_addc_co_u32_e64 v5, s[0:1], 0, v5, s[0:1]
	s_movk_i32 s0, 0xffde
	s_mov_b32 s1, -1
	global_load_dwordx4 v[172:175], v[4:5], off offset:256
	global_load_dwordx4 v[176:179], v[6:7], off offset:16
	v_lshl_add_u64 v[4:5], v[2:3], 0, s[0:1]
	v_cndmask_b32_e32 v5, v5, v133, vcc
	v_cndmask_b32_e32 v4, v4, v132, vcc
	v_lshlrev_b64 v[4:5], 5, v[4:5]
	v_lshl_add_u64 v[4:5], s[10:11], 0, v[4:5]
	v_add_co_u32_e64 v6, s[0:1], s33, v4
	v_fmac_f64_e32 v[10:11], v[242:243], v[144:145]
	s_nop 0
	v_addc_co_u32_e64 v7, s[0:1], 0, v5, s[0:1]
	global_load_dwordx4 v[132:135], v[6:7], off offset:256
	v_lshl_add_u64 v[4:5], v[4:5], 0, s[12:13]
	global_load_dwordx4 v[136:139], v[4:5], off offset:16
	v_mul_f64 v[4:5], v[250:251], v[142:143]
	v_mul_f64 v[6:7], v[248:249], v[142:143]
	v_fma_f64 v[4:5], v[248:249], v[140:141], -v[4:5]
	v_fmac_f64_e32 v[6:7], v[250:251], v[140:141]
	s_mov_b32 s0, 0xe8584caa
	s_mov_b32 s1, 0x3febb67a
	;; [unrolled: 1-line block ×4, first 2 shown]
	s_waitcnt vmcnt(9)
	v_mul_f64 v[12:13], v[238:239], v[150:151]
	v_mul_f64 v[14:15], v[236:237], v[150:151]
	s_waitcnt vmcnt(8)
	v_mul_f64 v[240:241], v[234:235], v[154:155]
	v_fma_f64 v[12:13], v[236:237], v[148:149], -v[12:13]
	v_mul_f64 v[242:243], v[232:233], v[154:155]
	v_fmac_f64_e32 v[14:15], v[238:239], v[148:149]
	v_fma_f64 v[238:239], v[232:233], v[152:153], -v[240:241]
	v_fmac_f64_e32 v[242:243], v[234:235], v[152:153]
	s_waitcnt vmcnt(7)
	v_mul_f64 v[248:249], v[222:223], v[158:159]
	v_fma_f64 v[248:249], v[220:221], v[156:157], -v[248:249]
	v_mul_f64 v[220:221], v[220:221], v[158:159]
	v_fmac_f64_e32 v[220:221], v[222:223], v[156:157]
	s_waitcnt vmcnt(6)
	v_mul_f64 v[222:223], v[226:227], v[162:163]
	v_fma_f64 v[222:223], v[224:225], v[160:161], -v[222:223]
	v_mul_f64 v[250:251], v[224:225], v[162:163]
	v_fmac_f64_e32 v[250:251], v[226:227], v[160:161]
	s_waitcnt vmcnt(5)
	v_mul_f64 v[224:225], v[230:231], v[166:167]
	v_fma_f64 v[16:17], v[228:229], v[164:165], -v[224:225]
	s_waitcnt vmcnt(4)
	v_mul_f64 v[224:225], v[214:215], v[170:171]
	v_fma_f64 v[20:21], v[212:213], v[168:169], -v[224:225]
	v_mul_f64 v[22:23], v[212:213], v[170:171]
	v_mul_f64 v[18:19], v[228:229], v[166:167]
	v_fmac_f64_e32 v[18:19], v[230:231], v[164:165]
	v_fmac_f64_e32 v[22:23], v[214:215], v[168:169]
	s_waitcnt vmcnt(3)
	v_mul_f64 v[212:213], v[218:219], v[174:175]
	v_fma_f64 v[24:25], v[216:217], v[172:173], -v[212:213]
	v_mul_f64 v[26:27], v[216:217], v[174:175]
	s_waitcnt vmcnt(2)
	v_mul_f64 v[212:213], v[210:211], v[178:179]
	v_fmac_f64_e32 v[26:27], v[218:219], v[172:173]
	v_fma_f64 v[216:217], v[208:209], v[176:177], -v[212:213]
	v_mul_f64 v[218:219], v[208:209], v[178:179]
	v_fmac_f64_e32 v[218:219], v[210:211], v[176:177]
	s_waitcnt vmcnt(1)
	v_mul_f64 v[208:209], v[182:183], v[134:135]
	v_fma_f64 v[208:209], v[180:181], v[132:133], -v[208:209]
	v_mul_f64 v[212:213], v[180:181], v[134:135]
	s_waitcnt vmcnt(0)
	v_mul_f64 v[180:181], v[246:247], v[138:139]
	v_fma_f64 v[210:211], v[244:245], v[136:137], -v[180:181]
	v_add_f64 v[180:181], v[204:205], v[4:5]
	v_add_f64 v[224:225], v[180:181], v[8:9]
	;; [unrolled: 1-line block ×3, first 2 shown]
	v_fmac_f64_e32 v[204:205], -0.5, v[180:181]
	v_add_f64 v[180:181], v[6:7], -v[10:11]
	v_fma_f64 v[228:229], s[0:1], v[180:181], v[204:205]
	v_fmac_f64_e32 v[204:205], s[10:11], v[180:181]
	v_add_f64 v[180:181], v[206:207], v[6:7]
	v_add_f64 v[6:7], v[6:7], v[10:11]
	v_fmac_f64_e32 v[206:207], -0.5, v[6:7]
	v_add_f64 v[4:5], v[4:5], -v[8:9]
	v_fma_f64 v[230:231], s[10:11], v[4:5], v[206:207]
	v_fmac_f64_e32 v[206:207], s[0:1], v[4:5]
	v_add_f64 v[4:5], v[200:201], v[12:13]
	v_add_f64 v[232:233], v[4:5], v[238:239]
	v_add_f64 v[4:5], v[12:13], v[238:239]
	v_fmac_f64_e32 v[200:201], -0.5, v[4:5]
	v_add_f64 v[4:5], v[14:15], -v[242:243]
	v_fma_f64 v[236:237], s[0:1], v[4:5], v[200:201]
	v_fmac_f64_e32 v[200:201], s[10:11], v[4:5]
	v_add_f64 v[4:5], v[202:203], v[14:15]
	;; [unrolled: 7-line block ×3, first 2 shown]
	v_add_f64 v[240:241], v[4:5], v[222:223]
	v_add_f64 v[4:5], v[248:249], v[222:223]
	v_fmac_f64_e32 v[196:197], -0.5, v[4:5]
	v_add_f64 v[4:5], v[220:221], -v[250:251]
	v_mul_f64 v[214:215], v[244:245], v[138:139]
	v_fma_f64 v[244:245], s[0:1], v[4:5], v[196:197]
	v_fmac_f64_e32 v[196:197], s[10:11], v[4:5]
	v_add_f64 v[4:5], v[198:199], v[220:221]
	v_add_f64 v[242:243], v[4:5], v[250:251]
	;; [unrolled: 1-line block ×3, first 2 shown]
	v_fmac_f64_e32 v[198:199], -0.5, v[4:5]
	v_add_f64 v[4:5], v[248:249], -v[222:223]
	v_fmac_f64_e32 v[214:215], v[246:247], v[136:137]
	v_fma_f64 v[246:247], s[10:11], v[4:5], v[198:199]
	v_fmac_f64_e32 v[198:199], s[0:1], v[4:5]
	v_add_f64 v[4:5], v[192:193], v[16:17]
	v_add_f64 v[248:249], v[4:5], v[20:21]
	;; [unrolled: 1-line block ×3, first 2 shown]
	v_fmac_f64_e32 v[192:193], -0.5, v[4:5]
	v_add_f64 v[6:7], v[18:19], -v[22:23]
	v_fma_f64 v[4:5], s[0:1], v[6:7], v[192:193]
	v_fmac_f64_e32 v[192:193], s[10:11], v[6:7]
	v_add_f64 v[6:7], v[194:195], v[18:19]
	v_add_f64 v[250:251], v[6:7], v[22:23]
	;; [unrolled: 1-line block ×4, first 2 shown]
	v_fmac_f64_e32 v[194:195], -0.5, v[6:7]
	v_add_f64 v[8:9], v[16:17], -v[20:21]
	v_add_f64 v[10:11], v[24:25], v[216:217]
	v_fma_f64 v[6:7], s[10:11], v[8:9], v[194:195]
	v_fmac_f64_e32 v[194:195], s[0:1], v[8:9]
	v_add_f64 v[8:9], v[188:189], v[24:25]
	v_fmac_f64_e32 v[188:189], -0.5, v[10:11]
	v_add_f64 v[10:11], v[26:27], -v[218:219]
	v_add_f64 v[14:15], v[26:27], v[218:219]
	v_fma_f64 v[12:13], s[0:1], v[10:11], v[188:189]
	v_fmac_f64_e32 v[188:189], s[10:11], v[10:11]
	v_add_f64 v[10:11], v[190:191], v[26:27]
	v_fmac_f64_e32 v[190:191], -0.5, v[14:15]
	v_add_f64 v[16:17], v[24:25], -v[216:217]
	v_fmac_f64_e32 v[212:213], v[182:183], v[132:133]
	v_fma_f64 v[14:15], s[10:11], v[16:17], v[190:191]
	v_fmac_f64_e32 v[190:191], s[0:1], v[16:17]
	v_add_f64 v[16:17], v[208:209], v[210:211]
	v_add_f64 v[8:9], v[8:9], v[216:217]
	v_fma_f64 v[216:217], -0.5, v[16:17], v[184:185]
	v_add_f64 v[16:17], v[212:213], v[214:215]
	v_add_f64 v[10:11], v[10:11], v[218:219]
	v_add_f64 v[218:219], v[212:213], -v[214:215]
	v_fma_f64 v[220:221], -0.5, v[16:17], v[186:187]
	v_add_f64 v[222:223], v[208:209], -v[210:211]
	v_fma_f64 v[180:181], s[10:11], v[218:219], v[216:217]
	v_fma_f64 v[182:183], s[0:1], v[222:223], v[220:221]
	ds_write_b128 v252, v[224:227]
	ds_write_b128 v252, v[228:231] offset:4624
	ds_write_b128 v252, v[204:207] offset:9248
	;; [unrolled: 1-line block ×14, first 2 shown]
	s_and_saveexec_b64 s[10:11], vcc
	s_cbranch_execz .LBB0_5
; %bb.4:
	v_add_f64 v[8:9], v[186:187], v[212:213]
	v_add_f64 v[10:11], v[8:9], v[214:215]
	v_add_f64 v[8:9], v[184:185], v[208:209]
	v_mul_f64 v[4:5], v[218:219], s[0:1]
	v_mul_f64 v[6:7], v[222:223], s[0:1]
	v_add_f64 v[8:9], v[8:9], v[210:211]
	v_add_f64 v[6:7], v[220:221], -v[6:7]
	v_add_f64 v[4:5], v[4:5], v[216:217]
	ds_write_b128 v252, v[8:11] offset:4080
	ds_write_b128 v252, v[4:7] offset:8704
	;; [unrolled: 1-line block ×3, first 2 shown]
.LBB0_5:
	s_or_b64 exec, exec, s[10:11]
	v_lshlrev_b32_e32 v0, 4, v2
	v_lshl_add_u64 v[0:1], s[8:9], 0, v[0:1]
	s_mov_b64 s[0:1], 0x3630
	v_lshl_add_u64 v[184:185], v[0:1], 0, s[0:1]
	s_movk_i32 s0, 0x3000
	v_add_co_u32_e64 v8, s[0:1], s0, v0
	s_waitcnt lgkmcnt(0)
	s_nop 0
	v_addc_co_u32_e64 v9, s[0:1], 0, v1, s[0:1]
	; wave barrier
	global_load_dwordx4 v[8:11], v[8:9], off offset:1584
	ds_read_b128 v[4:7], v252
	s_movk_i32 s0, 0x4000
	v_add_co_u32_e64 v16, s[0:1], s0, v0
	s_mov_b32 s14, 0x2b2883cd
	s_nop 0
	v_addc_co_u32_e64 v17, s[0:1], 0, v1, s[0:1]
	s_movk_i32 s0, 0x5000
	s_mov_b32 s12, 0x7c9e640b
	s_mov_b32 s15, 0x3fdc86fa
	;; [unrolled: 1-line block ×44, first 2 shown]
	s_waitcnt vmcnt(0) lgkmcnt(0)
	v_mul_f64 v[12:13], v[6:7], v[10:11]
	v_mul_f64 v[14:15], v[4:5], v[10:11]
	v_fma_f64 v[12:13], v[4:5], v[8:9], -v[12:13]
	v_fmac_f64_e32 v[14:15], v[6:7], v[8:9]
	global_load_dwordx4 v[8:11], v[184:185], off offset:816
	ds_read_b128 v[4:7], v252 offset:816
	ds_write_b128 v252, v[12:15]
	s_waitcnt vmcnt(0) lgkmcnt(1)
	v_mul_f64 v[12:13], v[6:7], v[10:11]
	v_mul_f64 v[14:15], v[4:5], v[10:11]
	v_fma_f64 v[12:13], v[4:5], v[8:9], -v[12:13]
	v_fmac_f64_e32 v[14:15], v[6:7], v[8:9]
	global_load_dwordx4 v[8:11], v[184:185], off offset:1632
	ds_read_b128 v[4:7], v252 offset:1632
	ds_write_b128 v252, v[12:15] offset:816
	s_waitcnt vmcnt(0) lgkmcnt(1)
	v_mul_f64 v[12:13], v[6:7], v[10:11]
	v_mul_f64 v[14:15], v[4:5], v[10:11]
	v_fma_f64 v[12:13], v[4:5], v[8:9], -v[12:13]
	v_fmac_f64_e32 v[14:15], v[6:7], v[8:9]
	global_load_dwordx4 v[8:11], v[184:185], off offset:2448
	ds_read_b128 v[4:7], v252 offset:2448
	ds_write_b128 v252, v[12:15] offset:1632
	;; [unrolled: 8-line block ×3, first 2 shown]
	s_waitcnt vmcnt(0) lgkmcnt(1)
	v_mul_f64 v[12:13], v[6:7], v[10:11]
	v_mul_f64 v[14:15], v[4:5], v[10:11]
	v_fma_f64 v[12:13], v[4:5], v[8:9], -v[12:13]
	v_fmac_f64_e32 v[14:15], v[6:7], v[8:9]
	global_load_dwordx4 v[8:11], v[184:185], off offset:4080
	ds_read_b128 v[4:7], v252 offset:4080
	ds_read_b128 v[184:187], v252 offset:13056
	ds_write_b128 v252, v[12:15] offset:3264
	s_waitcnt vmcnt(0) lgkmcnt(2)
	v_mul_f64 v[12:13], v[6:7], v[10:11]
	v_mul_f64 v[14:15], v[4:5], v[10:11]
	v_fma_f64 v[12:13], v[4:5], v[8:9], -v[12:13]
	v_fmac_f64_e32 v[14:15], v[6:7], v[8:9]
	global_load_dwordx4 v[8:11], v[16:17], off offset:2384
	ds_read_b128 v[4:7], v252 offset:4896
	ds_write_b128 v252, v[12:15] offset:4080
	s_waitcnt vmcnt(0) lgkmcnt(1)
	v_mul_f64 v[12:13], v[6:7], v[10:11]
	v_mul_f64 v[14:15], v[4:5], v[10:11]
	v_fma_f64 v[12:13], v[4:5], v[8:9], -v[12:13]
	v_fmac_f64_e32 v[14:15], v[6:7], v[8:9]
	global_load_dwordx4 v[8:11], v[16:17], off offset:3200
	;; [unrolled: 8-line block ×3, first 2 shown]
	ds_read_b128 v[4:7], v252 offset:6528
	v_add_co_u32_e64 v16, s[0:1], s0, v0
	ds_write_b128 v252, v[12:15] offset:5712
	s_nop 0
	v_addc_co_u32_e64 v17, s[0:1], 0, v1, s[0:1]
	s_movk_i32 s0, 0x6000
	s_nop 0
	v_add_co_u32_e64 v0, s[0:1], s0, v0
	s_waitcnt vmcnt(0) lgkmcnt(1)
	v_mul_f64 v[12:13], v[6:7], v[10:11]
	v_mul_f64 v[14:15], v[4:5], v[10:11]
	v_fma_f64 v[12:13], v[4:5], v[8:9], -v[12:13]
	v_fmac_f64_e32 v[14:15], v[6:7], v[8:9]
	global_load_dwordx4 v[8:11], v[16:17], off offset:736
	ds_read_b128 v[4:7], v252 offset:7344
	ds_write_b128 v252, v[12:15] offset:6528
	v_addc_co_u32_e64 v1, s[0:1], 0, v1, s[0:1]
	s_mov_b32 s0, 0xeb564b22
	s_mov_b32 s1, 0xbfefdd0d
	;; [unrolled: 1-line block ×3, first 2 shown]
	global_load_dwordx4 v[188:191], v[0:1], off offset:2352
	s_waitcnt vmcnt(1) lgkmcnt(1)
	v_mul_f64 v[12:13], v[6:7], v[10:11]
	v_mul_f64 v[14:15], v[4:5], v[10:11]
	v_fma_f64 v[12:13], v[4:5], v[8:9], -v[12:13]
	v_fmac_f64_e32 v[14:15], v[6:7], v[8:9]
	global_load_dwordx4 v[8:11], v[16:17], off offset:1552
	ds_read_b128 v[4:7], v252 offset:8160
	ds_write_b128 v252, v[12:15] offset:7344
	s_waitcnt vmcnt(0) lgkmcnt(1)
	v_mul_f64 v[12:13], v[6:7], v[10:11]
	v_mul_f64 v[14:15], v[4:5], v[10:11]
	v_fma_f64 v[12:13], v[4:5], v[8:9], -v[12:13]
	v_fmac_f64_e32 v[14:15], v[6:7], v[8:9]
	global_load_dwordx4 v[8:11], v[16:17], off offset:2368
	ds_read_b128 v[4:7], v252 offset:8976
	ds_write_b128 v252, v[12:15] offset:8160
	;; [unrolled: 8-line block ×6, first 2 shown]
	v_mul_f64 v[0:1], v[186:187], v[190:191]
	s_waitcnt vmcnt(0) lgkmcnt(1)
	v_mul_f64 v[14:15], v[4:5], v[10:11]
	v_mul_f64 v[12:13], v[6:7], v[10:11]
	v_fmac_f64_e32 v[14:15], v[6:7], v[8:9]
	v_mul_f64 v[6:7], v[184:185], v[190:191]
	v_fma_f64 v[12:13], v[4:5], v[8:9], -v[12:13]
	v_fma_f64 v[4:5], v[184:185], v[188:189], -v[0:1]
	v_fmac_f64_e32 v[6:7], v[186:187], v[188:189]
	ds_write_b128 v252, v[12:15] offset:12240
	ds_write_b128 v252, v[4:7] offset:13056
	s_waitcnt lgkmcnt(0)
	; wave barrier
	s_waitcnt lgkmcnt(0)
	ds_read_b128 v[232:235], v252
	ds_read_b128 v[4:7], v252 offset:816
	ds_read_b128 v[236:239], v252 offset:1632
	;; [unrolled: 1-line block ×16, first 2 shown]
	s_waitcnt lgkmcnt(14)
	v_add_f64 v[16:17], v[234:235], v[6:7]
	v_add_f64 v[0:1], v[232:233], v[4:5]
	;; [unrolled: 1-line block ×4, first 2 shown]
	s_waitcnt lgkmcnt(13)
	v_add_f64 v[16:17], v[16:17], v[230:231]
	v_add_f64 v[0:1], v[0:1], v[228:229]
	s_waitcnt lgkmcnt(12)
	v_add_f64 v[16:17], v[16:17], v[222:223]
	v_add_f64 v[0:1], v[0:1], v[220:221]
	;; [unrolled: 3-line block ×14, first 2 shown]
	v_add_f64 v[184:185], v[0:1], v[12:13]
	v_add_f64 v[0:1], v[4:5], v[12:13]
	v_add_f64 v[4:5], v[4:5], -v[12:13]
	v_add_f64 v[6:7], v[6:7], -v[14:15]
	v_mul_f64 v[250:251], v[16:17], s[14:15]
	v_mul_f64 v[246:247], v[6:7], s[12:13]
	v_fma_f64 v[28:29], s[16:17], v[4:5], v[250:251]
	v_fmac_f64_e32 v[250:251], s[12:13], v[4:5]
	v_fma_f64 v[248:249], s[14:15], v[0:1], v[246:247]
	v_fma_f64 v[30:31], v[0:1], s[14:15], -v[246:247]
	v_add_f64 v[246:247], v[234:235], v[250:251]
	v_mul_f64 v[250:251], v[6:7], s[0:1]
	v_mul_f64 v[18:19], v[16:17], s[28:29]
	;; [unrolled: 1-line block ×3, first 2 shown]
	v_fma_f64 v[32:33], s[8:9], v[0:1], v[250:251]
	v_mul_f64 v[34:35], v[16:17], s[8:9]
	v_fma_f64 v[38:39], v[0:1], s[8:9], -v[250:251]
	v_mul_f64 v[250:251], v[6:7], s[24:25]
	v_mul_f64 v[42:43], v[16:17], s[30:31]
	;; [unrolled: 1-line block ×5, first 2 shown]
	v_fma_f64 v[40:41], s[30:31], v[0:1], v[250:251]
	v_fma_f64 v[46:47], v[0:1], s[30:31], -v[250:251]
	v_mul_f64 v[250:251], v[6:7], s[38:39]
	v_fma_f64 v[64:65], s[54:55], v[4:5], v[16:17]
	v_fmac_f64_e32 v[16:17], s[50:51], v[4:5]
	v_mul_f64 v[12:13], v[6:7], s[26:27]
	v_fma_f64 v[20:21], s[34:35], v[4:5], v[18:19]
	v_fmac_f64_e32 v[18:19], s[26:27], v[4:5]
	;; [unrolled: 3-line block ×3, first 2 shown]
	v_fma_f64 v[36:37], s[10:11], v[4:5], v[34:35]
	v_fmac_f64_e32 v[34:35], s[0:1], v[4:5]
	v_fma_f64 v[44:45], s[36:37], v[4:5], v[42:43]
	v_fmac_f64_e32 v[42:43], s[24:25], v[4:5]
	v_fma_f64 v[48:49], s[40:41], v[0:1], v[250:251]
	v_fma_f64 v[52:53], s[42:43], v[4:5], v[50:51]
	v_fma_f64 v[54:55], v[0:1], s[40:41], -v[250:251]
	v_fmac_f64_e32 v[50:51], s[38:39], v[4:5]
	v_mul_f64 v[250:251], v[6:7], s[44:45]
	v_fma_f64 v[60:61], s[48:49], v[4:5], v[58:59]
	v_fmac_f64_e32 v[58:59], s[44:45], v[4:5]
	v_mul_f64 v[6:7], v[6:7], s[50:51]
	v_add_f64 v[4:5], v[234:235], v[16:17]
	v_add_f64 v[16:17], v[238:239], v[10:11]
	v_add_f64 v[10:11], v[238:239], -v[10:11]
	v_fma_f64 v[14:15], s[28:29], v[0:1], v[12:13]
	v_fma_f64 v[12:13], v[0:1], s[28:29], -v[12:13]
	v_fma_f64 v[24:25], s[20:21], v[0:1], v[22:23]
	v_fma_f64 v[22:23], v[0:1], s[20:21], -v[22:23]
	v_fma_f64 v[56:57], s[46:47], v[0:1], v[250:251]
	v_fma_f64 v[62:63], v[0:1], s[46:47], -v[250:251]
	v_fma_f64 v[250:251], s[52:53], v[0:1], v[6:7]
	v_fma_f64 v[0:1], v[0:1], s[52:53], -v[6:7]
	v_add_f64 v[6:7], v[236:237], v[8:9]
	v_mul_f64 v[66:67], v[10:11], s[18:19]
	v_add_f64 v[14:15], v[232:233], v[14:15]
	v_add_f64 v[12:13], v[232:233], v[12:13]
	;; [unrolled: 1-line block ×16, first 2 shown]
	v_fma_f64 v[232:233], s[20:21], v[6:7], v[66:67]
	v_add_f64 v[8:9], v[236:237], -v[8:9]
	v_add_f64 v[14:15], v[232:233], v[14:15]
	v_mul_f64 v[232:233], v[16:17], s[20:21]
	v_fma_f64 v[66:67], v[6:7], s[20:21], -v[66:67]
	v_add_f64 v[20:21], v[234:235], v[20:21]
	v_add_f64 v[18:19], v[234:235], v[18:19]
	;; [unrolled: 1-line block ×14, first 2 shown]
	v_fma_f64 v[234:235], s[22:23], v[8:9], v[232:233]
	v_add_f64 v[12:13], v[66:67], v[12:13]
	v_fmac_f64_e32 v[232:233], s[18:19], v[8:9]
	v_mul_f64 v[66:67], v[10:11], s[0:1]
	v_add_f64 v[18:19], v[232:233], v[18:19]
	v_fma_f64 v[232:233], s[8:9], v[6:7], v[66:67]
	v_add_f64 v[24:25], v[232:233], v[24:25]
	v_mul_f64 v[232:233], v[16:17], s[8:9]
	v_fma_f64 v[66:67], v[6:7], s[8:9], -v[66:67]
	v_add_f64 v[20:21], v[234:235], v[20:21]
	v_fma_f64 v[234:235], s[10:11], v[8:9], v[232:233]
	v_add_f64 v[22:23], v[66:67], v[22:23]
	v_fmac_f64_e32 v[232:233], s[0:1], v[8:9]
	v_mul_f64 v[66:67], v[10:11], s[38:39]
	v_mul_f64 v[236:237], v[16:17], s[40:41]
	v_add_f64 v[26:27], v[232:233], v[26:27]
	v_fma_f64 v[232:233], s[40:41], v[6:7], v[66:67]
	v_fma_f64 v[238:239], s[42:43], v[8:9], v[236:237]
	v_fma_f64 v[66:67], v[6:7], s[40:41], -v[66:67]
	v_fmac_f64_e32 v[236:237], s[38:39], v[8:9]
	v_add_f64 v[30:31], v[66:67], v[30:31]
	v_add_f64 v[66:67], v[236:237], v[246:247]
	v_mul_f64 v[236:237], v[10:11], s[50:51]
	v_add_f64 v[28:29], v[238:239], v[28:29]
	v_fma_f64 v[238:239], s[52:53], v[6:7], v[236:237]
	v_add_f64 v[32:33], v[238:239], v[32:33]
	v_mul_f64 v[238:239], v[16:17], s[52:53]
	v_fma_f64 v[236:237], v[6:7], s[52:53], -v[236:237]
	v_add_f64 v[234:235], v[234:235], v[244:245]
	v_fma_f64 v[244:245], s[54:55], v[8:9], v[238:239]
	v_add_f64 v[38:39], v[236:237], v[38:39]
	v_fmac_f64_e32 v[238:239], s[50:51], v[8:9]
	v_mul_f64 v[236:237], v[10:11], s[48:49]
	v_add_f64 v[34:35], v[238:239], v[34:35]
	v_fma_f64 v[238:239], s[46:47], v[6:7], v[236:237]
	v_add_f64 v[40:41], v[238:239], v[40:41]
	v_mul_f64 v[238:239], v[16:17], s[46:47]
	v_fma_f64 v[236:237], v[6:7], s[46:47], -v[236:237]
	v_add_f64 v[36:37], v[244:245], v[36:37]
	v_fma_f64 v[244:245], s[44:45], v[8:9], v[238:239]
	v_add_f64 v[46:47], v[236:237], v[46:47]
	v_fmac_f64_e32 v[238:239], s[48:49], v[8:9]
	;; [unrolled: 10-line block ×3, first 2 shown]
	v_mul_f64 v[236:237], v[10:11], s[16:17]
	v_add_f64 v[50:51], v[238:239], v[50:51]
	v_fma_f64 v[238:239], s[14:15], v[6:7], v[236:237]
	v_add_f64 v[56:57], v[238:239], v[56:57]
	v_mul_f64 v[238:239], v[16:17], s[14:15]
	v_add_f64 v[52:53], v[244:245], v[52:53]
	v_fma_f64 v[244:245], s[12:13], v[8:9], v[238:239]
	v_fmac_f64_e32 v[238:239], s[16:17], v[8:9]
	v_mul_f64 v[16:17], v[16:17], s[28:29]
	v_fma_f64 v[236:237], v[6:7], s[14:15], -v[236:237]
	v_add_f64 v[58:59], v[238:239], v[58:59]
	v_mul_f64 v[10:11], v[10:11], s[34:35]
	v_fma_f64 v[238:239], s[26:27], v[8:9], v[16:17]
	v_fmac_f64_e32 v[16:17], s[34:35], v[8:9]
	v_add_f64 v[62:63], v[236:237], v[62:63]
	v_fma_f64 v[236:237], s[28:29], v[6:7], v[10:11]
	v_fma_f64 v[6:7], v[6:7], s[28:29], -v[10:11]
	v_add_f64 v[4:5], v[16:17], v[4:5]
	v_add_f64 v[16:17], v[230:231], -v[242:243]
	v_add_f64 v[0:1], v[6:7], v[0:1]
	v_add_f64 v[6:7], v[228:229], v[240:241]
	v_add_f64 v[10:11], v[228:229], -v[240:241]
	v_mul_f64 v[228:229], v[16:17], s[12:13]
	v_add_f64 v[8:9], v[230:231], v[242:243]
	v_fma_f64 v[230:231], s[14:15], v[6:7], v[228:229]
	v_add_f64 v[14:15], v[230:231], v[14:15]
	v_mul_f64 v[230:231], v[8:9], s[14:15]
	v_fma_f64 v[228:229], v[6:7], s[14:15], -v[228:229]
	v_add_f64 v[64:65], v[238:239], v[64:65]
	v_fma_f64 v[238:239], s[16:17], v[10:11], v[230:231]
	v_add_f64 v[12:13], v[228:229], v[12:13]
	v_fmac_f64_e32 v[230:231], s[12:13], v[10:11]
	v_mul_f64 v[228:229], v[16:17], s[38:39]
	v_add_f64 v[18:19], v[230:231], v[18:19]
	v_fma_f64 v[230:231], s[40:41], v[6:7], v[228:229]
	v_add_f64 v[24:25], v[230:231], v[24:25]
	v_mul_f64 v[230:231], v[8:9], s[40:41]
	v_fma_f64 v[228:229], v[6:7], s[40:41], -v[228:229]
	v_add_f64 v[20:21], v[238:239], v[20:21]
	v_fma_f64 v[238:239], s[42:43], v[10:11], v[230:231]
	v_add_f64 v[22:23], v[228:229], v[22:23]
	v_fmac_f64_e32 v[230:231], s[38:39], v[10:11]
	v_mul_f64 v[228:229], v[16:17], s[54:55]
	v_add_f64 v[232:233], v[232:233], v[248:249]
	v_add_f64 v[26:27], v[230:231], v[26:27]
	v_fma_f64 v[230:231], s[52:53], v[6:7], v[228:229]
	v_add_f64 v[230:231], v[230:231], v[232:233]
	v_mul_f64 v[232:233], v[8:9], s[52:53]
	v_fma_f64 v[228:229], v[6:7], s[52:53], -v[228:229]
	v_add_f64 v[234:235], v[238:239], v[234:235]
	v_fma_f64 v[238:239], s[50:51], v[10:11], v[232:233]
	v_add_f64 v[30:31], v[228:229], v[30:31]
	v_fmac_f64_e32 v[232:233], s[54:55], v[10:11]
	v_mul_f64 v[228:229], v[16:17], s[36:37]
	v_add_f64 v[66:67], v[232:233], v[66:67]
	v_fma_f64 v[232:233], s[30:31], v[6:7], v[228:229]
	v_add_f64 v[32:33], v[232:233], v[32:33]
	v_mul_f64 v[232:233], v[8:9], s[30:31]
	v_fma_f64 v[228:229], v[6:7], s[30:31], -v[228:229]
	v_add_f64 v[28:29], v[238:239], v[28:29]
	v_fma_f64 v[238:239], s[24:25], v[10:11], v[232:233]
	v_add_f64 v[38:39], v[228:229], v[38:39]
	v_fmac_f64_e32 v[232:233], s[36:37], v[10:11]
	v_mul_f64 v[228:229], v[16:17], s[22:23]
	;; [unrolled: 10-line block ×4, first 2 shown]
	v_add_f64 v[50:51], v[232:233], v[50:51]
	v_fma_f64 v[232:233], s[8:9], v[6:7], v[228:229]
	v_add_f64 v[56:57], v[232:233], v[56:57]
	v_mul_f64 v[232:233], v[8:9], s[8:9]
	v_fma_f64 v[228:229], v[6:7], s[8:9], -v[228:229]
	v_mul_f64 v[16:17], v[16:17], s[44:45]
	v_add_f64 v[52:53], v[238:239], v[52:53]
	v_fma_f64 v[238:239], s[10:11], v[10:11], v[232:233]
	v_add_f64 v[62:63], v[228:229], v[62:63]
	v_fmac_f64_e32 v[232:233], s[0:1], v[10:11]
	v_fma_f64 v[228:229], s[46:47], v[6:7], v[16:17]
	v_mul_f64 v[8:9], v[8:9], s[46:47]
	v_fma_f64 v[6:7], v[6:7], s[46:47], -v[16:17]
	v_add_f64 v[16:17], v[222:223], -v[226:227]
	v_add_f64 v[58:59], v[232:233], v[58:59]
	v_fma_f64 v[232:233], s[48:49], v[10:11], v[8:9]
	v_add_f64 v[0:1], v[6:7], v[0:1]
	v_fmac_f64_e32 v[8:9], s[44:45], v[10:11]
	v_add_f64 v[6:7], v[220:221], v[224:225]
	v_add_f64 v[10:11], v[220:221], -v[224:225]
	v_mul_f64 v[220:221], v[16:17], s[0:1]
	v_add_f64 v[4:5], v[8:9], v[4:5]
	v_add_f64 v[8:9], v[222:223], v[226:227]
	v_fma_f64 v[222:223], s[8:9], v[6:7], v[220:221]
	v_add_f64 v[14:15], v[222:223], v[14:15]
	v_mul_f64 v[222:223], v[8:9], s[8:9]
	v_fma_f64 v[220:221], v[6:7], s[8:9], -v[220:221]
	v_fma_f64 v[224:225], s[10:11], v[10:11], v[222:223]
	v_add_f64 v[12:13], v[220:221], v[12:13]
	v_fmac_f64_e32 v[222:223], s[0:1], v[10:11]
	v_mul_f64 v[220:221], v[16:17], s[50:51]
	v_add_f64 v[18:19], v[222:223], v[18:19]
	v_fma_f64 v[222:223], s[52:53], v[6:7], v[220:221]
	v_add_f64 v[24:25], v[222:223], v[24:25]
	v_mul_f64 v[222:223], v[8:9], s[52:53]
	v_fma_f64 v[220:221], v[6:7], s[52:53], -v[220:221]
	v_add_f64 v[20:21], v[224:225], v[20:21]
	v_fma_f64 v[224:225], s[54:55], v[10:11], v[222:223]
	v_add_f64 v[22:23], v[220:221], v[22:23]
	v_fmac_f64_e32 v[222:223], s[50:51], v[10:11]
	v_mul_f64 v[220:221], v[16:17], s[36:37]
	v_add_f64 v[26:27], v[222:223], v[26:27]
	v_fma_f64 v[222:223], s[30:31], v[6:7], v[220:221]
	v_mul_f64 v[226:227], v[8:9], s[30:31]
	v_fma_f64 v[220:221], v[6:7], s[30:31], -v[220:221]
	v_add_f64 v[222:223], v[222:223], v[230:231]
	v_fma_f64 v[230:231], s[24:25], v[10:11], v[226:227]
	v_add_f64 v[30:31], v[220:221], v[30:31]
	v_fmac_f64_e32 v[226:227], s[36:37], v[10:11]
	v_mul_f64 v[220:221], v[16:17], s[34:35]
	v_add_f64 v[66:67], v[226:227], v[66:67]
	v_fma_f64 v[226:227], s[28:29], v[6:7], v[220:221]
	v_add_f64 v[32:33], v[226:227], v[32:33]
	v_mul_f64 v[226:227], v[8:9], s[28:29]
	v_fma_f64 v[220:221], v[6:7], s[28:29], -v[220:221]
	v_add_f64 v[28:29], v[230:231], v[28:29]
	v_fma_f64 v[230:231], s[26:27], v[10:11], v[226:227]
	v_add_f64 v[38:39], v[220:221], v[38:39]
	v_fmac_f64_e32 v[226:227], s[34:35], v[10:11]
	v_mul_f64 v[220:221], v[16:17], s[12:13]
	v_add_f64 v[34:35], v[226:227], v[34:35]
	v_fma_f64 v[226:227], s[14:15], v[6:7], v[220:221]
	v_add_f64 v[40:41], v[226:227], v[40:41]
	;; [unrolled: 10-line block ×4, first 2 shown]
	v_mul_f64 v[226:227], v[8:9], s[40:41]
	v_fma_f64 v[220:221], v[6:7], s[40:41], -v[220:221]
	v_mul_f64 v[16:17], v[16:17], s[22:23]
	v_add_f64 v[52:53], v[230:231], v[52:53]
	v_fma_f64 v[230:231], s[38:39], v[10:11], v[226:227]
	v_add_f64 v[62:63], v[220:221], v[62:63]
	v_fmac_f64_e32 v[226:227], s[42:43], v[10:11]
	v_fma_f64 v[220:221], s[20:21], v[6:7], v[16:17]
	v_mul_f64 v[8:9], v[8:9], s[20:21]
	v_fma_f64 v[6:7], v[6:7], s[20:21], -v[16:17]
	v_add_f64 v[16:17], v[214:215], -v[218:219]
	v_add_f64 v[58:59], v[226:227], v[58:59]
	v_fma_f64 v[226:227], s[18:19], v[10:11], v[8:9]
	v_add_f64 v[0:1], v[6:7], v[0:1]
	v_fmac_f64_e32 v[8:9], s[22:23], v[10:11]
	v_add_f64 v[6:7], v[212:213], v[216:217]
	v_add_f64 v[10:11], v[212:213], -v[216:217]
	v_mul_f64 v[212:213], v[16:17], s[24:25]
	v_add_f64 v[4:5], v[8:9], v[4:5]
	v_add_f64 v[8:9], v[214:215], v[218:219]
	v_fma_f64 v[214:215], s[30:31], v[6:7], v[212:213]
	v_add_f64 v[14:15], v[214:215], v[14:15]
	v_mul_f64 v[214:215], v[8:9], s[30:31]
	v_fma_f64 v[212:213], v[6:7], s[30:31], -v[212:213]
	v_fma_f64 v[216:217], s[36:37], v[10:11], v[214:215]
	v_add_f64 v[12:13], v[212:213], v[12:13]
	v_fmac_f64_e32 v[214:215], s[24:25], v[10:11]
	v_mul_f64 v[212:213], v[16:17], s[48:49]
	v_add_f64 v[18:19], v[214:215], v[18:19]
	v_fma_f64 v[214:215], s[46:47], v[6:7], v[212:213]
	v_add_f64 v[24:25], v[214:215], v[24:25]
	v_mul_f64 v[214:215], v[8:9], s[46:47]
	v_fma_f64 v[212:213], v[6:7], s[46:47], -v[212:213]
	v_add_f64 v[20:21], v[216:217], v[20:21]
	v_fma_f64 v[216:217], s[44:45], v[10:11], v[214:215]
	v_add_f64 v[22:23], v[212:213], v[22:23]
	v_fmac_f64_e32 v[214:215], s[48:49], v[10:11]
	v_mul_f64 v[212:213], v[16:17], s[22:23]
	v_add_f64 v[26:27], v[214:215], v[26:27]
	v_fma_f64 v[214:215], s[20:21], v[6:7], v[212:213]
	v_mul_f64 v[218:219], v[8:9], s[20:21]
	v_fma_f64 v[212:213], v[6:7], s[20:21], -v[212:213]
	v_add_f64 v[214:215], v[214:215], v[222:223]
	v_fma_f64 v[222:223], s[18:19], v[10:11], v[218:219]
	v_add_f64 v[30:31], v[212:213], v[30:31]
	v_fmac_f64_e32 v[218:219], s[22:23], v[10:11]
	v_mul_f64 v[212:213], v[16:17], s[12:13]
	v_add_f64 v[66:67], v[218:219], v[66:67]
	v_fma_f64 v[218:219], s[14:15], v[6:7], v[212:213]
	v_add_f64 v[32:33], v[218:219], v[32:33]
	v_mul_f64 v[218:219], v[8:9], s[14:15]
	v_fma_f64 v[212:213], v[6:7], s[14:15], -v[212:213]
	v_add_f64 v[28:29], v[222:223], v[28:29]
	v_fma_f64 v[222:223], s[16:17], v[10:11], v[218:219]
	v_add_f64 v[38:39], v[212:213], v[38:39]
	v_fmac_f64_e32 v[218:219], s[12:13], v[10:11]
	v_mul_f64 v[212:213], v[16:17], s[50:51]
	v_add_f64 v[34:35], v[218:219], v[34:35]
	v_fma_f64 v[218:219], s[52:53], v[6:7], v[212:213]
	v_add_f64 v[40:41], v[218:219], v[40:41]
	;; [unrolled: 10-line block ×4, first 2 shown]
	v_mul_f64 v[218:219], v[8:9], s[28:29]
	v_fma_f64 v[212:213], v[6:7], s[28:29], -v[212:213]
	v_mul_f64 v[16:17], v[16:17], s[38:39]
	v_add_f64 v[52:53], v[222:223], v[52:53]
	v_fma_f64 v[222:223], s[34:35], v[10:11], v[218:219]
	v_add_f64 v[62:63], v[212:213], v[62:63]
	v_fmac_f64_e32 v[218:219], s[26:27], v[10:11]
	v_fma_f64 v[212:213], s[40:41], v[6:7], v[16:17]
	v_mul_f64 v[8:9], v[8:9], s[40:41]
	v_fma_f64 v[6:7], v[6:7], s[40:41], -v[16:17]
	v_add_f64 v[16:17], v[206:207], -v[210:211]
	v_add_f64 v[58:59], v[218:219], v[58:59]
	v_fma_f64 v[218:219], s[42:43], v[10:11], v[8:9]
	v_add_f64 v[0:1], v[6:7], v[0:1]
	v_fmac_f64_e32 v[8:9], s[38:39], v[10:11]
	v_add_f64 v[6:7], v[204:205], v[208:209]
	v_add_f64 v[10:11], v[204:205], -v[208:209]
	v_mul_f64 v[204:205], v[16:17], s[38:39]
	v_add_f64 v[4:5], v[8:9], v[4:5]
	v_add_f64 v[8:9], v[206:207], v[210:211]
	v_fma_f64 v[206:207], s[40:41], v[6:7], v[204:205]
	v_add_f64 v[14:15], v[206:207], v[14:15]
	v_mul_f64 v[206:207], v[8:9], s[40:41]
	v_fma_f64 v[204:205], v[6:7], s[40:41], -v[204:205]
	v_fma_f64 v[208:209], s[42:43], v[10:11], v[206:207]
	v_add_f64 v[12:13], v[204:205], v[12:13]
	v_fmac_f64_e32 v[206:207], s[38:39], v[10:11]
	v_mul_f64 v[204:205], v[16:17], s[36:37]
	v_add_f64 v[18:19], v[206:207], v[18:19]
	v_fma_f64 v[206:207], s[30:31], v[6:7], v[204:205]
	v_add_f64 v[24:25], v[206:207], v[24:25]
	v_mul_f64 v[206:207], v[8:9], s[30:31]
	v_fma_f64 v[204:205], v[6:7], s[30:31], -v[204:205]
	v_add_f64 v[20:21], v[208:209], v[20:21]
	v_fma_f64 v[208:209], s[24:25], v[10:11], v[206:207]
	v_add_f64 v[22:23], v[204:205], v[22:23]
	v_fmac_f64_e32 v[206:207], s[36:37], v[10:11]
	v_mul_f64 v[204:205], v[16:17], s[26:27]
	v_add_f64 v[26:27], v[206:207], v[26:27]
	v_fma_f64 v[206:207], s[28:29], v[6:7], v[204:205]
	v_mul_f64 v[210:211], v[8:9], s[28:29]
	v_fma_f64 v[204:205], v[6:7], s[28:29], -v[204:205]
	v_add_f64 v[206:207], v[206:207], v[214:215]
	v_fma_f64 v[214:215], s[34:35], v[10:11], v[210:211]
	v_add_f64 v[30:31], v[204:205], v[30:31]
	v_fmac_f64_e32 v[210:211], s[26:27], v[10:11]
	v_mul_f64 v[204:205], v[16:17], s[44:45]
	v_add_f64 v[66:67], v[210:211], v[66:67]
	v_fma_f64 v[210:211], s[46:47], v[6:7], v[204:205]
	v_add_f64 v[32:33], v[210:211], v[32:33]
	v_mul_f64 v[210:211], v[8:9], s[46:47]
	v_fma_f64 v[204:205], v[6:7], s[46:47], -v[204:205]
	v_add_f64 v[28:29], v[214:215], v[28:29]
	v_fma_f64 v[214:215], s[48:49], v[10:11], v[210:211]
	v_add_f64 v[38:39], v[204:205], v[38:39]
	v_fmac_f64_e32 v[210:211], s[44:45], v[10:11]
	v_mul_f64 v[204:205], v[16:17], s[10:11]
	v_add_f64 v[34:35], v[210:211], v[34:35]
	v_fma_f64 v[210:211], s[8:9], v[6:7], v[204:205]
	v_add_f64 v[40:41], v[210:211], v[40:41]
	;; [unrolled: 10-line block ×4, first 2 shown]
	v_mul_f64 v[210:211], v[8:9], s[52:53]
	v_fma_f64 v[204:205], v[6:7], s[52:53], -v[204:205]
	v_mul_f64 v[16:17], v[16:17], s[16:17]
	v_add_f64 v[52:53], v[214:215], v[52:53]
	v_fma_f64 v[214:215], s[54:55], v[10:11], v[210:211]
	v_add_f64 v[62:63], v[204:205], v[62:63]
	v_fmac_f64_e32 v[210:211], s[50:51], v[10:11]
	v_fma_f64 v[204:205], s[14:15], v[6:7], v[16:17]
	v_mul_f64 v[8:9], v[8:9], s[14:15]
	v_fma_f64 v[6:7], v[6:7], s[14:15], -v[16:17]
	v_add_f64 v[16:17], v[198:199], -v[202:203]
	v_add_f64 v[58:59], v[210:211], v[58:59]
	v_fma_f64 v[210:211], s[12:13], v[10:11], v[8:9]
	v_add_f64 v[0:1], v[6:7], v[0:1]
	v_fmac_f64_e32 v[8:9], s[16:17], v[10:11]
	v_add_f64 v[6:7], v[196:197], v[200:201]
	v_add_f64 v[10:11], v[196:197], -v[200:201]
	v_mul_f64 v[196:197], v[16:17], s[44:45]
	v_add_f64 v[4:5], v[8:9], v[4:5]
	v_add_f64 v[8:9], v[198:199], v[202:203]
	v_fma_f64 v[198:199], s[46:47], v[6:7], v[196:197]
	v_add_f64 v[14:15], v[198:199], v[14:15]
	v_mul_f64 v[198:199], v[8:9], s[46:47]
	v_fma_f64 v[196:197], v[6:7], s[46:47], -v[196:197]
	v_fma_f64 v[200:201], s[48:49], v[10:11], v[198:199]
	v_add_f64 v[12:13], v[196:197], v[12:13]
	v_fmac_f64_e32 v[198:199], s[44:45], v[10:11]
	v_mul_f64 v[196:197], v[16:17], s[16:17]
	v_add_f64 v[18:19], v[198:199], v[18:19]
	v_fma_f64 v[198:199], s[14:15], v[6:7], v[196:197]
	v_add_f64 v[24:25], v[198:199], v[24:25]
	v_mul_f64 v[198:199], v[8:9], s[14:15]
	v_fma_f64 v[196:197], v[6:7], s[14:15], -v[196:197]
	v_add_f64 v[20:21], v[200:201], v[20:21]
	v_fma_f64 v[200:201], s[12:13], v[10:11], v[198:199]
	v_add_f64 v[22:23], v[196:197], v[22:23]
	v_fmac_f64_e32 v[198:199], s[16:17], v[10:11]
	v_mul_f64 v[196:197], v[16:17], s[0:1]
	v_add_f64 v[26:27], v[198:199], v[26:27]
	v_fma_f64 v[198:199], s[8:9], v[6:7], v[196:197]
	v_mul_f64 v[202:203], v[8:9], s[8:9]
	v_fma_f64 v[196:197], v[6:7], s[8:9], -v[196:197]
	v_add_f64 v[198:199], v[198:199], v[206:207]
	v_fma_f64 v[206:207], s[10:11], v[10:11], v[202:203]
	v_add_f64 v[30:31], v[196:197], v[30:31]
	v_fmac_f64_e32 v[202:203], s[0:1], v[10:11]
	v_mul_f64 v[196:197], v[16:17], s[42:43]
	v_add_f64 v[66:67], v[202:203], v[66:67]
	v_fma_f64 v[202:203], s[40:41], v[6:7], v[196:197]
	v_add_f64 v[32:33], v[202:203], v[32:33]
	v_mul_f64 v[202:203], v[8:9], s[40:41]
	v_fma_f64 v[196:197], v[6:7], s[40:41], -v[196:197]
	v_add_f64 v[28:29], v[206:207], v[28:29]
	v_fma_f64 v[206:207], s[38:39], v[10:11], v[202:203]
	v_add_f64 v[38:39], v[196:197], v[38:39]
	v_fmac_f64_e32 v[202:203], s[42:43], v[10:11]
	v_mul_f64 v[196:197], v[16:17], s[26:27]
	v_add_f64 v[34:35], v[202:203], v[34:35]
	v_fma_f64 v[202:203], s[28:29], v[6:7], v[196:197]
	v_add_f64 v[40:41], v[202:203], v[40:41]
	v_mul_f64 v[202:203], v[8:9], s[28:29]
	v_fma_f64 v[196:197], v[6:7], s[28:29], -v[196:197]
	v_add_f64 v[36:37], v[206:207], v[36:37]
	v_fma_f64 v[206:207], s[34:35], v[10:11], v[202:203]
	v_add_f64 v[46:47], v[196:197], v[46:47]
	v_fmac_f64_e32 v[202:203], s[26:27], v[10:11]
	v_mul_f64 v[196:197], v[16:17], s[50:51]
	v_add_f64 v[236:237], v[236:237], v[250:251]
	v_add_f64 v[42:43], v[202:203], v[42:43]
	v_fma_f64 v[202:203], s[52:53], v[6:7], v[196:197]
	v_add_f64 v[228:229], v[228:229], v[236:237]
	v_add_f64 v[48:49], v[202:203], v[48:49]
	v_mul_f64 v[202:203], v[8:9], s[52:53]
	v_fma_f64 v[196:197], v[6:7], s[52:53], -v[196:197]
	v_add_f64 v[220:221], v[220:221], v[228:229]
	v_add_f64 v[44:45], v[206:207], v[44:45]
	v_fma_f64 v[206:207], s[54:55], v[10:11], v[202:203]
	v_add_f64 v[54:55], v[196:197], v[54:55]
	v_fmac_f64_e32 v[202:203], s[50:51], v[10:11]
	v_mul_f64 v[196:197], v[16:17], s[22:23]
	v_add_f64 v[212:213], v[212:213], v[220:221]
	v_add_f64 v[50:51], v[202:203], v[50:51]
	v_fma_f64 v[202:203], s[20:21], v[6:7], v[196:197]
	v_fma_f64 v[196:197], v[6:7], s[20:21], -v[196:197]
	v_mul_f64 v[16:17], v[16:17], s[24:25]
	v_add_f64 v[60:61], v[244:245], v[60:61]
	v_add_f64 v[224:225], v[224:225], v[234:235]
	;; [unrolled: 1-line block ×4, first 2 shown]
	v_mul_f64 v[202:203], v[8:9], s[20:21]
	v_add_f64 v[62:63], v[196:197], v[62:63]
	v_fma_f64 v[196:197], s[30:31], v[6:7], v[16:17]
	v_mul_f64 v[8:9], v[8:9], s[30:31]
	v_add_f64 v[234:235], v[190:191], v[194:195]
	v_add_f64 v[60:61], v[238:239], v[60:61]
	;; [unrolled: 1-line block ×4, first 2 shown]
	v_fma_f64 v[206:207], s[18:19], v[10:11], v[202:203]
	v_fmac_f64_e32 v[202:203], s[22:23], v[10:11]
	v_add_f64 v[232:233], v[196:197], v[204:205]
	v_fma_f64 v[196:197], s[36:37], v[10:11], v[8:9]
	v_fma_f64 v[6:7], v[6:7], s[30:31], -v[16:17]
	v_fmac_f64_e32 v[8:9], s[24:25], v[10:11]
	v_add_f64 v[238:239], v[188:189], -v[192:193]
	v_add_f64 v[240:241], v[190:191], -v[194:195]
	v_mul_f64 v[10:11], v[234:235], s[52:53]
	v_add_f64 v[0:1], v[6:7], v[0:1]
	v_add_f64 v[16:17], v[8:9], v[4:5]
	;; [unrolled: 1-line block ×3, first 2 shown]
	v_mul_f64 v[8:9], v[240:241], s[50:51]
	v_fma_f64 v[6:7], s[54:55], v[238:239], v[10:11]
	v_fmac_f64_e32 v[10:11], s[50:51], v[238:239]
	v_fma_f64 v[4:5], s[52:53], v[236:237], v[8:9]
	v_fma_f64 v[8:9], v[236:237], s[52:53], -v[8:9]
	v_add_f64 v[10:11], v[10:11], v[18:19]
	v_mul_f64 v[18:19], v[240:241], s[34:35]
	v_add_f64 v[6:7], v[6:7], v[20:21]
	v_add_f64 v[8:9], v[8:9], v[12:13]
	v_fma_f64 v[12:13], s[28:29], v[236:237], v[18:19]
	v_mul_f64 v[20:21], v[234:235], s[28:29]
	v_fma_f64 v[18:19], v[236:237], s[28:29], -v[18:19]
	v_add_f64 v[64:65], v[226:227], v[64:65]
	v_add_f64 v[4:5], v[4:5], v[14:15]
	v_fma_f64 v[14:15], s[26:27], v[238:239], v[20:21]
	v_add_f64 v[188:189], v[18:19], v[22:23]
	v_fmac_f64_e32 v[20:21], s[34:35], v[238:239]
	v_mul_f64 v[18:19], v[240:241], s[44:45]
	v_add_f64 v[64:65], v[218:219], v[64:65]
	v_add_f64 v[190:191], v[20:21], v[26:27]
	v_fma_f64 v[20:21], s[46:47], v[236:237], v[18:19]
	v_add_f64 v[216:217], v[216:217], v[224:225]
	v_add_f64 v[64:65], v[210:211], v[64:65]
	;; [unrolled: 1-line block ×3, first 2 shown]
	v_mul_f64 v[20:21], v[234:235], s[46:47]
	v_fma_f64 v[18:19], v[236:237], s[46:47], -v[18:19]
	v_add_f64 v[208:209], v[208:209], v[216:217]
	v_add_f64 v[64:65], v[196:197], v[64:65]
	v_fma_f64 v[22:23], s[48:49], v[238:239], v[20:21]
	v_add_f64 v[196:197], v[18:19], v[30:31]
	v_fmac_f64_e32 v[20:21], s[44:45], v[238:239]
	v_mul_f64 v[18:19], v[240:241], s[22:23]
	v_add_f64 v[60:61], v[230:231], v[60:61]
	v_add_f64 v[200:201], v[200:201], v[208:209]
	v_add_f64 v[198:199], v[20:21], v[66:67]
	v_fma_f64 v[20:21], s[20:21], v[236:237], v[18:19]
	v_add_f64 v[60:61], v[222:223], v[60:61]
	v_add_f64 v[14:15], v[14:15], v[200:201]
	;; [unrolled: 1-line block ×3, first 2 shown]
	v_mul_f64 v[20:21], v[234:235], s[20:21]
	v_fma_f64 v[18:19], v[236:237], s[20:21], -v[18:19]
	v_add_f64 v[60:61], v[214:215], v[60:61]
	v_add_f64 v[194:195], v[22:23], v[28:29]
	v_fma_f64 v[22:23], s[18:19], v[238:239], v[20:21]
	v_add_f64 v[204:205], v[18:19], v[38:39]
	v_fmac_f64_e32 v[20:21], s[22:23], v[238:239]
	v_mul_f64 v[18:19], v[240:241], s[38:39]
	v_add_f64 v[60:61], v[206:207], v[60:61]
	v_add_f64 v[206:207], v[20:21], v[34:35]
	v_fma_f64 v[20:21], s[40:41], v[236:237], v[18:19]
	v_add_f64 v[208:209], v[20:21], v[40:41]
	v_mul_f64 v[20:21], v[234:235], s[40:41]
	v_fma_f64 v[18:19], v[236:237], s[40:41], -v[18:19]
	v_add_f64 v[58:59], v[202:203], v[58:59]
	v_add_f64 v[202:203], v[22:23], v[36:37]
	v_fma_f64 v[22:23], s[42:43], v[238:239], v[20:21]
	v_add_f64 v[212:213], v[18:19], v[46:47]
	v_fmac_f64_e32 v[20:21], s[38:39], v[238:239]
	v_mul_f64 v[18:19], v[240:241], s[16:17]
	v_add_f64 v[214:215], v[20:21], v[42:43]
	v_fma_f64 v[20:21], s[14:15], v[236:237], v[18:19]
	v_add_f64 v[216:217], v[20:21], v[48:49]
	v_mul_f64 v[20:21], v[234:235], s[14:15]
	v_fma_f64 v[18:19], v[236:237], s[14:15], -v[18:19]
	v_add_f64 v[210:211], v[22:23], v[44:45]
	v_fma_f64 v[22:23], s[12:13], v[238:239], v[20:21]
	v_add_f64 v[220:221], v[18:19], v[54:55]
	v_fmac_f64_e32 v[20:21], s[16:17], v[238:239]
	v_mul_f64 v[18:19], v[240:241], s[24:25]
	v_add_f64 v[222:223], v[20:21], v[50:51]
	v_fma_f64 v[20:21], s[30:31], v[236:237], v[18:19]
	v_add_f64 v[224:225], v[20:21], v[56:57]
	v_mul_f64 v[20:21], v[234:235], s[30:31]
	v_fma_f64 v[18:19], v[236:237], s[30:31], -v[18:19]
	v_add_f64 v[218:219], v[22:23], v[52:53]
	v_fma_f64 v[22:23], s[36:37], v[238:239], v[20:21]
	v_add_f64 v[228:229], v[18:19], v[62:63]
	v_fmac_f64_e32 v[20:21], s[24:25], v[238:239]
	v_mul_f64 v[18:19], v[240:241], s[10:11]
	v_add_f64 v[230:231], v[20:21], v[58:59]
	v_fma_f64 v[20:21], s[8:9], v[236:237], v[18:19]
	v_add_f64 v[232:233], v[20:21], v[232:233]
	v_mul_f64 v[20:21], v[234:235], s[8:9]
	v_add_f64 v[226:227], v[22:23], v[60:61]
	v_fma_f64 v[22:23], s[0:1], v[238:239], v[20:21]
	v_fma_f64 v[18:19], v[236:237], s[8:9], -v[18:19]
	v_fmac_f64_e32 v[20:21], s[10:11], v[238:239]
	v_add_f64 v[12:13], v[12:13], v[24:25]
	v_add_f64 v[234:235], v[22:23], v[64:65]
	v_add_f64 v[236:237], v[18:19], v[0:1]
	v_add_f64 v[238:239], v[20:21], v[16:17]
	s_waitcnt lgkmcnt(0)
	; wave barrier
	ds_write_b128 v253, v[184:187]
	ds_write_b128 v253, v[4:7] offset:16
	ds_write_b128 v253, v[12:15] offset:32
	;; [unrolled: 1-line block ×16, first 2 shown]
	s_waitcnt lgkmcnt(0)
	; wave barrier
	s_waitcnt lgkmcnt(0)
	ds_read_b128 v[184:187], v252
	ds_read_b128 v[4:7], v252 offset:816
	ds_read_b128 v[8:11], v252 offset:1632
	;; [unrolled: 1-line block ×16, first 2 shown]
	s_waitcnt lgkmcnt(14)
	v_mul_f64 v[16:17], v[82:83], v[6:7]
	v_mul_f64 v[0:1], v[82:83], v[4:5]
	v_fmac_f64_e32 v[16:17], v[80:81], v[4:5]
	v_fma_f64 v[4:5], v[80:81], v[6:7], -v[0:1]
	v_mul_f64 v[6:7], v[78:79], v[10:11]
	v_mul_f64 v[0:1], v[78:79], v[8:9]
	v_fmac_f64_e32 v[6:7], v[76:77], v[8:9]
	v_fma_f64 v[8:9], v[76:77], v[10:11], -v[0:1]
	s_waitcnt lgkmcnt(13)
	v_mul_f64 v[0:1], v[74:75], v[12:13]
	v_add_f64 v[26:27], v[186:187], v[4:5]
	v_mul_f64 v[194:195], v[74:75], v[14:15]
	v_fma_f64 v[196:197], v[72:73], v[14:15], -v[0:1]
	s_waitcnt lgkmcnt(12)
	v_mul_f64 v[0:1], v[70:71], v[198:199]
	v_add_f64 v[24:25], v[184:185], v[16:17]
	v_add_f64 v[26:27], v[26:27], v[8:9]
	v_fmac_f64_e32 v[194:195], v[72:73], v[12:13]
	v_mul_f64 v[190:191], v[70:71], v[200:201]
	v_fma_f64 v[192:193], v[68:69], v[200:201], -v[0:1]
	s_waitcnt lgkmcnt(11)
	v_mul_f64 v[188:189], v[98:99], v[204:205]
	v_mul_f64 v[0:1], v[98:99], v[202:203]
	v_add_f64 v[24:25], v[24:25], v[6:7]
	v_add_f64 v[26:27], v[26:27], v[196:197]
	v_fmac_f64_e32 v[190:191], v[68:69], v[198:199]
	v_fmac_f64_e32 v[188:189], v[96:97], v[202:203]
	v_fma_f64 v[98:99], v[96:97], v[204:205], -v[0:1]
	s_waitcnt lgkmcnt(10)
	v_mul_f64 v[96:97], v[94:95], v[208:209]
	v_mul_f64 v[0:1], v[94:95], v[206:207]
	v_add_f64 v[24:25], v[24:25], v[194:195]
	v_add_f64 v[26:27], v[26:27], v[192:193]
	v_fmac_f64_e32 v[96:97], v[92:93], v[206:207]
	v_fma_f64 v[92:93], v[92:93], v[208:209], -v[0:1]
	s_waitcnt lgkmcnt(9)
	v_mul_f64 v[0:1], v[90:91], v[210:211]
	v_add_f64 v[24:25], v[24:25], v[190:191]
	v_add_f64 v[26:27], v[26:27], v[98:99]
	v_mul_f64 v[78:79], v[90:91], v[212:213]
	v_fma_f64 v[80:81], v[88:89], v[212:213], -v[0:1]
	s_waitcnt lgkmcnt(8)
	v_mul_f64 v[10:11], v[86:87], v[214:215]
	v_add_f64 v[24:25], v[24:25], v[188:189]
	v_add_f64 v[26:27], v[26:27], v[92:93]
	v_fmac_f64_e32 v[78:79], v[88:89], v[210:211]
	v_mul_f64 v[0:1], v[86:87], v[216:217]
	v_fma_f64 v[72:73], v[84:85], v[216:217], -v[10:11]
	s_waitcnt lgkmcnt(7)
	v_mul_f64 v[10:11], v[114:115], v[218:219]
	v_add_f64 v[24:25], v[24:25], v[96:97]
	v_add_f64 v[26:27], v[26:27], v[80:81]
	v_fmac_f64_e32 v[0:1], v[84:85], v[214:215]
	;; [unrolled: 7-line block ×9, first 2 shown]
	v_mul_f64 v[20:21], v[118:119], v[248:249]
	v_fma_f64 v[22:23], v[116:117], v[248:249], -v[22:23]
	v_add_f64 v[24:25], v[24:25], v[10:11]
	v_add_f64 v[26:27], v[26:27], v[18:19]
	v_fmac_f64_e32 v[20:21], v[116:117], v[246:247]
	v_add_f64 v[24:25], v[24:25], v[14:15]
	v_add_f64 v[70:71], v[26:27], v[22:23]
	v_add_f64 v[26:27], v[4:5], v[22:23]
	v_add_f64 v[68:69], v[24:25], v[20:21]
	v_add_f64 v[24:25], v[16:17], v[20:21]
	v_add_f64 v[16:17], v[16:17], -v[20:21]
	v_mul_f64 v[28:29], v[26:27], s[28:29]
	v_mul_f64 v[36:37], v[26:27], s[20:21]
	;; [unrolled: 1-line block ×8, first 2 shown]
	v_add_f64 v[4:5], v[4:5], -v[22:23]
	v_fma_f64 v[118:119], s[54:55], v[16:17], v[26:27]
	v_fmac_f64_e32 v[26:27], s[50:51], v[16:17]
	v_mul_f64 v[20:21], v[4:5], s[26:27]
	v_fma_f64 v[30:31], s[34:35], v[16:17], v[28:29]
	v_fmac_f64_e32 v[28:29], s[26:27], v[16:17]
	v_mul_f64 v[32:33], v[4:5], s[18:19]
	;; [unrolled: 3-line block ×8, first 2 shown]
	v_add_f64 v[16:17], v[186:187], v[26:27]
	v_add_f64 v[26:27], v[8:9], v[18:19]
	v_add_f64 v[8:9], v[8:9], -v[18:19]
	v_fma_f64 v[22:23], s[28:29], v[24:25], v[20:21]
	v_fma_f64 v[20:21], v[24:25], s[28:29], -v[20:21]
	v_fma_f64 v[34:35], s[20:21], v[24:25], v[32:33]
	v_fma_f64 v[32:33], v[24:25], s[20:21], -v[32:33]
	;; [unrolled: 2-line block ×8, first 2 shown]
	v_add_f64 v[24:25], v[6:7], v[14:15]
	v_add_f64 v[6:7], v[6:7], -v[14:15]
	v_mul_f64 v[14:15], v[8:9], s[18:19]
	v_add_f64 v[22:23], v[184:185], v[22:23]
	v_fma_f64 v[18:19], s[20:21], v[24:25], v[14:15]
	v_add_f64 v[18:19], v[18:19], v[22:23]
	v_mul_f64 v[22:23], v[26:27], s[20:21]
	v_add_f64 v[20:21], v[184:185], v[20:21]
	v_add_f64 v[28:29], v[186:187], v[28:29]
	v_fma_f64 v[120:121], s[22:23], v[6:7], v[22:23]
	v_fma_f64 v[14:15], v[24:25], s[20:21], -v[14:15]
	v_fmac_f64_e32 v[22:23], s[18:19], v[6:7]
	v_add_f64 v[14:15], v[14:15], v[20:21]
	v_add_f64 v[20:21], v[22:23], v[28:29]
	v_mul_f64 v[22:23], v[8:9], s[0:1]
	v_add_f64 v[34:35], v[184:185], v[34:35]
	v_fma_f64 v[28:29], s[8:9], v[24:25], v[22:23]
	v_add_f64 v[30:31], v[186:187], v[30:31]
	v_add_f64 v[28:29], v[28:29], v[34:35]
	v_mul_f64 v[34:35], v[26:27], s[8:9]
	v_add_f64 v[32:33], v[184:185], v[32:33]
	v_add_f64 v[36:37], v[186:187], v[36:37]
	v_add_f64 v[30:31], v[120:121], v[30:31]
	v_fma_f64 v[120:121], s[10:11], v[6:7], v[34:35]
	v_fma_f64 v[22:23], v[24:25], s[8:9], -v[22:23]
	v_fmac_f64_e32 v[34:35], s[0:1], v[6:7]
	v_add_f64 v[22:23], v[22:23], v[32:33]
	v_add_f64 v[32:33], v[34:35], v[36:37]
	v_mul_f64 v[34:35], v[8:9], s[38:39]
	v_add_f64 v[42:43], v[184:185], v[42:43]
	v_fma_f64 v[36:37], s[40:41], v[24:25], v[34:35]
	v_add_f64 v[38:39], v[186:187], v[38:39]
	v_add_f64 v[36:37], v[36:37], v[42:43]
	v_mul_f64 v[42:43], v[26:27], s[40:41]
	v_add_f64 v[40:41], v[184:185], v[40:41]
	;; [unrolled: 14-line block ×6, first 2 shown]
	v_add_f64 v[112:113], v[186:187], v[112:113]
	v_add_f64 v[106:107], v[120:121], v[106:107]
	v_fma_f64 v[120:121], s[12:13], v[6:7], v[110:111]
	v_fma_f64 v[66:67], v[24:25], s[14:15], -v[66:67]
	v_fmac_f64_e32 v[110:111], s[16:17], v[6:7]
	v_mul_f64 v[26:27], v[26:27], s[28:29]
	v_add_f64 v[66:67], v[66:67], v[108:109]
	v_add_f64 v[108:109], v[110:111], v[112:113]
	v_mul_f64 v[8:9], v[8:9], s[34:35]
	v_fma_f64 v[112:113], s[26:27], v[6:7], v[26:27]
	v_fmac_f64_e32 v[26:27], s[34:35], v[6:7]
	v_add_f64 v[4:5], v[184:185], v[4:5]
	v_fma_f64 v[110:111], s[28:29], v[24:25], v[8:9]
	v_fma_f64 v[8:9], v[24:25], s[28:29], -v[8:9]
	v_add_f64 v[6:7], v[26:27], v[16:17]
	v_add_f64 v[16:17], v[196:197], v[12:13]
	v_add_f64 v[12:13], v[196:197], -v[12:13]
	v_add_f64 v[4:5], v[8:9], v[4:5]
	v_add_f64 v[8:9], v[194:195], v[10:11]
	v_mul_f64 v[24:25], v[12:13], s[12:13]
	v_fma_f64 v[26:27], s[14:15], v[8:9], v[24:25]
	v_add_f64 v[116:117], v[184:185], v[116:117]
	v_add_f64 v[10:11], v[194:195], -v[10:11]
	v_add_f64 v[18:19], v[26:27], v[18:19]
	v_mul_f64 v[26:27], v[16:17], s[14:15]
	v_fma_f64 v[24:25], v[8:9], s[14:15], -v[24:25]
	v_add_f64 v[110:111], v[110:111], v[116:117]
	v_fma_f64 v[116:117], s[16:17], v[10:11], v[26:27]
	v_add_f64 v[14:15], v[24:25], v[14:15]
	v_fmac_f64_e32 v[26:27], s[12:13], v[10:11]
	v_mul_f64 v[24:25], v[12:13], s[38:39]
	v_add_f64 v[20:21], v[26:27], v[20:21]
	v_fma_f64 v[26:27], s[40:41], v[8:9], v[24:25]
	v_add_f64 v[26:27], v[26:27], v[28:29]
	v_mul_f64 v[28:29], v[16:17], s[40:41]
	v_add_f64 v[30:31], v[116:117], v[30:31]
	v_fma_f64 v[116:117], s[42:43], v[10:11], v[28:29]
	v_fma_f64 v[24:25], v[8:9], s[40:41], -v[24:25]
	v_fmac_f64_e32 v[28:29], s[38:39], v[10:11]
	v_add_f64 v[22:23], v[24:25], v[22:23]
	v_add_f64 v[24:25], v[28:29], v[32:33]
	v_mul_f64 v[28:29], v[12:13], s[54:55]
	v_fma_f64 v[32:33], s[52:53], v[8:9], v[28:29]
	v_add_f64 v[32:33], v[32:33], v[36:37]
	v_mul_f64 v[36:37], v[16:17], s[52:53]
	v_add_f64 v[38:39], v[116:117], v[38:39]
	v_fma_f64 v[116:117], s[50:51], v[10:11], v[36:37]
	v_fma_f64 v[28:29], v[8:9], s[52:53], -v[28:29]
	v_fmac_f64_e32 v[36:37], s[54:55], v[10:11]
	v_add_f64 v[28:29], v[28:29], v[34:35]
	v_add_f64 v[34:35], v[36:37], v[40:41]
	v_mul_f64 v[36:37], v[12:13], s[36:37]
	v_fma_f64 v[40:41], s[30:31], v[8:9], v[36:37]
	v_add_f64 v[40:41], v[40:41], v[44:45]
	v_mul_f64 v[44:45], v[16:17], s[30:31]
	v_add_f64 v[46:47], v[116:117], v[46:47]
	v_fma_f64 v[116:117], s[24:25], v[10:11], v[44:45]
	v_fma_f64 v[36:37], v[8:9], s[30:31], -v[36:37]
	v_fmac_f64_e32 v[44:45], s[36:37], v[10:11]
	v_add_f64 v[36:37], v[36:37], v[42:43]
	v_add_f64 v[42:43], v[44:45], v[48:49]
	v_mul_f64 v[44:45], v[12:13], s[22:23]
	v_fma_f64 v[48:49], s[20:21], v[8:9], v[44:45]
	v_add_f64 v[48:49], v[48:49], v[52:53]
	v_mul_f64 v[52:53], v[16:17], s[20:21]
	v_add_f64 v[54:55], v[116:117], v[54:55]
	v_fma_f64 v[116:117], s[18:19], v[10:11], v[52:53]
	v_fma_f64 v[44:45], v[8:9], s[20:21], -v[44:45]
	v_fmac_f64_e32 v[52:53], s[22:23], v[10:11]
	v_add_f64 v[44:45], v[44:45], v[50:51]
	v_add_f64 v[50:51], v[52:53], v[56:57]
	v_mul_f64 v[52:53], v[12:13], s[26:27]
	v_fma_f64 v[56:57], s[28:29], v[8:9], v[52:53]
	v_add_f64 v[56:57], v[56:57], v[60:61]
	v_mul_f64 v[60:61], v[16:17], s[28:29]
	v_add_f64 v[62:63], v[116:117], v[62:63]
	v_fma_f64 v[116:117], s[34:35], v[10:11], v[60:61]
	v_fma_f64 v[52:53], v[8:9], s[28:29], -v[52:53]
	v_fmac_f64_e32 v[60:61], s[26:27], v[10:11]
	v_add_f64 v[52:53], v[52:53], v[58:59]
	v_add_f64 v[58:59], v[60:61], v[64:65]
	v_mul_f64 v[60:61], v[12:13], s[0:1]
	v_fma_f64 v[64:65], s[8:9], v[8:9], v[60:61]
	v_add_f64 v[64:65], v[64:65], v[104:105]
	v_mul_f64 v[104:105], v[16:17], s[8:9]
	v_add_f64 v[106:107], v[116:117], v[106:107]
	v_fma_f64 v[116:117], s[10:11], v[10:11], v[104:105]
	v_fma_f64 v[60:61], v[8:9], s[8:9], -v[60:61]
	v_fmac_f64_e32 v[104:105], s[0:1], v[10:11]
	v_mul_f64 v[16:17], v[16:17], s[46:47]
	v_add_f64 v[60:61], v[60:61], v[66:67]
	v_add_f64 v[66:67], v[104:105], v[108:109]
	v_mul_f64 v[12:13], v[12:13], s[44:45]
	v_fma_f64 v[108:109], s[48:49], v[10:11], v[16:17]
	v_fmac_f64_e32 v[16:17], s[44:45], v[10:11]
	v_fma_f64 v[104:105], s[46:47], v[8:9], v[12:13]
	v_fma_f64 v[8:9], v[8:9], s[46:47], -v[12:13]
	v_add_f64 v[6:7], v[16:17], v[6:7]
	v_add_f64 v[16:17], v[192:193], -v[102:103]
	v_add_f64 v[4:5], v[8:9], v[4:5]
	v_add_f64 v[8:9], v[190:191], v[100:101]
	v_add_f64 v[12:13], v[190:191], -v[100:101]
	v_mul_f64 v[100:101], v[16:17], s[0:1]
	v_add_f64 v[10:11], v[192:193], v[102:103]
	v_fma_f64 v[102:103], s[8:9], v[8:9], v[100:101]
	v_add_f64 v[18:19], v[102:103], v[18:19]
	v_mul_f64 v[102:103], v[10:11], s[8:9]
	v_fma_f64 v[100:101], v[8:9], s[8:9], -v[100:101]
	v_add_f64 v[104:105], v[104:105], v[110:111]
	v_fma_f64 v[110:111], s[10:11], v[12:13], v[102:103]
	v_add_f64 v[14:15], v[100:101], v[14:15]
	v_fmac_f64_e32 v[102:103], s[0:1], v[12:13]
	v_mul_f64 v[100:101], v[16:17], s[50:51]
	v_add_f64 v[20:21], v[102:103], v[20:21]
	v_fma_f64 v[102:103], s[52:53], v[8:9], v[100:101]
	v_add_f64 v[26:27], v[102:103], v[26:27]
	v_mul_f64 v[102:103], v[10:11], s[52:53]
	v_fma_f64 v[100:101], v[8:9], s[52:53], -v[100:101]
	v_add_f64 v[30:31], v[110:111], v[30:31]
	v_fma_f64 v[110:111], s[54:55], v[12:13], v[102:103]
	v_add_f64 v[22:23], v[100:101], v[22:23]
	v_fmac_f64_e32 v[102:103], s[50:51], v[12:13]
	;; [unrolled: 10-line block ×6, first 2 shown]
	v_mul_f64 v[100:101], v[16:17], s[42:43]
	v_add_f64 v[58:59], v[102:103], v[58:59]
	v_fma_f64 v[102:103], s[40:41], v[8:9], v[100:101]
	v_add_f64 v[64:65], v[102:103], v[64:65]
	v_mul_f64 v[102:103], v[10:11], s[40:41]
	v_fma_f64 v[100:101], v[8:9], s[40:41], -v[100:101]
	v_mul_f64 v[16:17], v[16:17], s[22:23]
	v_add_f64 v[106:107], v[110:111], v[106:107]
	v_fma_f64 v[110:111], s[38:39], v[12:13], v[102:103]
	v_add_f64 v[60:61], v[100:101], v[60:61]
	v_fmac_f64_e32 v[102:103], s[42:43], v[12:13]
	v_fma_f64 v[100:101], s[20:21], v[8:9], v[16:17]
	v_mul_f64 v[10:11], v[10:11], s[20:21]
	v_fma_f64 v[8:9], v[8:9], s[20:21], -v[16:17]
	v_add_f64 v[16:17], v[98:99], -v[94:95]
	v_add_f64 v[66:67], v[102:103], v[66:67]
	v_fma_f64 v[102:103], s[18:19], v[12:13], v[10:11]
	v_add_f64 v[4:5], v[8:9], v[4:5]
	v_fmac_f64_e32 v[10:11], s[22:23], v[12:13]
	v_add_f64 v[8:9], v[188:189], v[90:91]
	v_add_f64 v[12:13], v[188:189], -v[90:91]
	v_mul_f64 v[90:91], v[16:17], s[24:25]
	v_add_f64 v[6:7], v[10:11], v[6:7]
	v_add_f64 v[10:11], v[98:99], v[94:95]
	v_fma_f64 v[94:95], s[30:31], v[8:9], v[90:91]
	v_add_f64 v[18:19], v[94:95], v[18:19]
	v_mul_f64 v[94:95], v[10:11], s[30:31]
	v_fma_f64 v[90:91], v[8:9], s[30:31], -v[90:91]
	v_fma_f64 v[98:99], s[36:37], v[12:13], v[94:95]
	v_add_f64 v[14:15], v[90:91], v[14:15]
	v_fmac_f64_e32 v[94:95], s[24:25], v[12:13]
	v_mul_f64 v[90:91], v[16:17], s[48:49]
	v_add_f64 v[20:21], v[94:95], v[20:21]
	v_fma_f64 v[94:95], s[46:47], v[8:9], v[90:91]
	v_add_f64 v[26:27], v[94:95], v[26:27]
	v_mul_f64 v[94:95], v[10:11], s[46:47]
	v_fma_f64 v[90:91], v[8:9], s[46:47], -v[90:91]
	v_add_f64 v[30:31], v[98:99], v[30:31]
	v_fma_f64 v[98:99], s[44:45], v[12:13], v[94:95]
	v_add_f64 v[22:23], v[90:91], v[22:23]
	v_fmac_f64_e32 v[94:95], s[48:49], v[12:13]
	v_mul_f64 v[90:91], v[16:17], s[22:23]
	v_add_f64 v[24:25], v[94:95], v[24:25]
	v_fma_f64 v[94:95], s[20:21], v[8:9], v[90:91]
	v_add_f64 v[32:33], v[94:95], v[32:33]
	v_mul_f64 v[94:95], v[10:11], s[20:21]
	v_fma_f64 v[90:91], v[8:9], s[20:21], -v[90:91]
	v_add_f64 v[38:39], v[98:99], v[38:39]
	;; [unrolled: 10-line block ×5, first 2 shown]
	v_fma_f64 v[98:99], s[0:1], v[12:13], v[94:95]
	v_add_f64 v[52:53], v[90:91], v[52:53]
	v_fmac_f64_e32 v[94:95], s[10:11], v[12:13]
	v_mul_f64 v[90:91], v[16:17], s[26:27]
	v_add_f64 v[58:59], v[94:95], v[58:59]
	v_fma_f64 v[94:95], s[28:29], v[8:9], v[90:91]
	v_add_f64 v[64:65], v[94:95], v[64:65]
	v_mul_f64 v[94:95], v[10:11], s[28:29]
	v_fma_f64 v[90:91], v[8:9], s[28:29], -v[90:91]
	v_mul_f64 v[16:17], v[16:17], s[38:39]
	v_add_f64 v[100:101], v[100:101], v[104:105]
	v_fma_f64 v[104:105], s[34:35], v[12:13], v[94:95]
	v_add_f64 v[60:61], v[90:91], v[60:61]
	v_fmac_f64_e32 v[94:95], s[26:27], v[12:13]
	v_fma_f64 v[90:91], s[40:41], v[8:9], v[16:17]
	v_mul_f64 v[10:11], v[10:11], s[40:41]
	v_fma_f64 v[8:9], v[8:9], s[40:41], -v[16:17]
	v_add_f64 v[16:17], v[92:93], -v[88:89]
	v_add_f64 v[66:67], v[94:95], v[66:67]
	v_fma_f64 v[94:95], s[42:43], v[12:13], v[10:11]
	v_add_f64 v[4:5], v[8:9], v[4:5]
	v_fmac_f64_e32 v[10:11], s[38:39], v[12:13]
	v_add_f64 v[8:9], v[96:97], v[86:87]
	v_add_f64 v[12:13], v[96:97], -v[86:87]
	v_mul_f64 v[86:87], v[16:17], s[38:39]
	v_add_f64 v[6:7], v[10:11], v[6:7]
	v_add_f64 v[10:11], v[92:93], v[88:89]
	v_fma_f64 v[88:89], s[40:41], v[8:9], v[86:87]
	v_add_f64 v[18:19], v[88:89], v[18:19]
	v_mul_f64 v[88:89], v[10:11], s[40:41]
	v_fma_f64 v[86:87], v[8:9], s[40:41], -v[86:87]
	v_fma_f64 v[92:93], s[42:43], v[12:13], v[88:89]
	v_add_f64 v[14:15], v[86:87], v[14:15]
	v_fmac_f64_e32 v[88:89], s[38:39], v[12:13]
	v_mul_f64 v[86:87], v[16:17], s[36:37]
	v_add_f64 v[20:21], v[88:89], v[20:21]
	v_fma_f64 v[88:89], s[30:31], v[8:9], v[86:87]
	v_add_f64 v[26:27], v[88:89], v[26:27]
	v_mul_f64 v[88:89], v[10:11], s[30:31]
	v_fma_f64 v[86:87], v[8:9], s[30:31], -v[86:87]
	v_add_f64 v[30:31], v[92:93], v[30:31]
	v_fma_f64 v[92:93], s[24:25], v[12:13], v[88:89]
	v_add_f64 v[22:23], v[86:87], v[22:23]
	v_fmac_f64_e32 v[88:89], s[36:37], v[12:13]
	v_mul_f64 v[86:87], v[16:17], s[26:27]
	v_add_f64 v[24:25], v[88:89], v[24:25]
	v_fma_f64 v[88:89], s[28:29], v[8:9], v[86:87]
	v_add_f64 v[32:33], v[88:89], v[32:33]
	v_mul_f64 v[88:89], v[10:11], s[28:29]
	v_fma_f64 v[86:87], v[8:9], s[28:29], -v[86:87]
	v_add_f64 v[38:39], v[92:93], v[38:39]
	;; [unrolled: 10-line block ×5, first 2 shown]
	v_fma_f64 v[92:93], s[22:23], v[12:13], v[88:89]
	v_add_f64 v[52:53], v[86:87], v[52:53]
	v_fmac_f64_e32 v[88:89], s[18:19], v[12:13]
	v_mul_f64 v[86:87], v[16:17], s[50:51]
	v_add_f64 v[58:59], v[88:89], v[58:59]
	v_fma_f64 v[88:89], s[52:53], v[8:9], v[86:87]
	v_add_f64 v[64:65], v[88:89], v[64:65]
	v_mul_f64 v[88:89], v[10:11], s[52:53]
	v_fma_f64 v[86:87], v[8:9], s[52:53], -v[86:87]
	v_mul_f64 v[16:17], v[16:17], s[16:17]
	v_fma_f64 v[96:97], s[54:55], v[12:13], v[88:89]
	v_add_f64 v[60:61], v[86:87], v[60:61]
	v_fmac_f64_e32 v[88:89], s[50:51], v[12:13]
	v_fma_f64 v[86:87], s[14:15], v[8:9], v[16:17]
	v_mul_f64 v[10:11], v[10:11], s[14:15]
	v_fma_f64 v[8:9], v[8:9], s[14:15], -v[16:17]
	v_add_f64 v[16:17], v[80:81], -v[84:85]
	v_add_f64 v[66:67], v[88:89], v[66:67]
	v_fma_f64 v[88:89], s[12:13], v[12:13], v[10:11]
	v_add_f64 v[4:5], v[8:9], v[4:5]
	v_fmac_f64_e32 v[10:11], s[16:17], v[12:13]
	v_add_f64 v[8:9], v[78:79], v[82:83]
	v_add_f64 v[12:13], v[78:79], -v[82:83]
	v_mul_f64 v[78:79], v[16:17], s[44:45]
	v_add_f64 v[6:7], v[10:11], v[6:7]
	v_add_f64 v[10:11], v[80:81], v[84:85]
	v_fma_f64 v[80:81], s[46:47], v[8:9], v[78:79]
	v_add_f64 v[18:19], v[80:81], v[18:19]
	v_mul_f64 v[80:81], v[10:11], s[46:47]
	v_fma_f64 v[78:79], v[8:9], s[46:47], -v[78:79]
	v_fma_f64 v[82:83], s[48:49], v[12:13], v[80:81]
	v_add_f64 v[14:15], v[78:79], v[14:15]
	v_fmac_f64_e32 v[80:81], s[44:45], v[12:13]
	v_mul_f64 v[78:79], v[16:17], s[16:17]
	v_add_f64 v[20:21], v[80:81], v[20:21]
	v_fma_f64 v[80:81], s[14:15], v[8:9], v[78:79]
	v_add_f64 v[26:27], v[80:81], v[26:27]
	v_mul_f64 v[80:81], v[10:11], s[14:15]
	v_fma_f64 v[78:79], v[8:9], s[14:15], -v[78:79]
	v_add_f64 v[30:31], v[82:83], v[30:31]
	v_fma_f64 v[82:83], s[12:13], v[12:13], v[80:81]
	v_add_f64 v[22:23], v[78:79], v[22:23]
	v_fmac_f64_e32 v[80:81], s[16:17], v[12:13]
	v_mul_f64 v[78:79], v[16:17], s[0:1]
	v_add_f64 v[24:25], v[80:81], v[24:25]
	v_fma_f64 v[80:81], s[8:9], v[8:9], v[78:79]
	v_add_f64 v[32:33], v[80:81], v[32:33]
	v_mul_f64 v[80:81], v[10:11], s[8:9]
	v_fma_f64 v[78:79], v[8:9], s[8:9], -v[78:79]
	v_add_f64 v[38:39], v[82:83], v[38:39]
	v_fma_f64 v[82:83], s[10:11], v[12:13], v[80:81]
	v_add_f64 v[28:29], v[78:79], v[28:29]
	v_fmac_f64_e32 v[80:81], s[0:1], v[12:13]
	v_mul_f64 v[78:79], v[16:17], s[42:43]
	v_add_f64 v[34:35], v[80:81], v[34:35]
	v_fma_f64 v[80:81], s[40:41], v[8:9], v[78:79]
	v_add_f64 v[40:41], v[80:81], v[40:41]
	v_mul_f64 v[80:81], v[10:11], s[40:41]
	v_fma_f64 v[78:79], v[8:9], s[40:41], -v[78:79]
	v_add_f64 v[46:47], v[82:83], v[46:47]
	v_fma_f64 v[82:83], s[38:39], v[12:13], v[80:81]
	v_add_f64 v[36:37], v[78:79], v[36:37]
	v_fmac_f64_e32 v[80:81], s[42:43], v[12:13]
	v_mul_f64 v[78:79], v[16:17], s[26:27]
	v_add_f64 v[42:43], v[80:81], v[42:43]
	v_fma_f64 v[80:81], s[28:29], v[8:9], v[78:79]
	v_add_f64 v[48:49], v[80:81], v[48:49]
	v_mul_f64 v[80:81], v[10:11], s[28:29]
	v_fma_f64 v[78:79], v[8:9], s[28:29], -v[78:79]
	v_add_f64 v[54:55], v[82:83], v[54:55]
	v_fma_f64 v[82:83], s[34:35], v[12:13], v[80:81]
	v_add_f64 v[44:45], v[78:79], v[44:45]
	v_fmac_f64_e32 v[80:81], s[26:27], v[12:13]
	v_mul_f64 v[78:79], v[16:17], s[50:51]
	v_add_f64 v[50:51], v[80:81], v[50:51]
	v_fma_f64 v[80:81], s[52:53], v[8:9], v[78:79]
	v_add_f64 v[56:57], v[80:81], v[56:57]
	v_mul_f64 v[80:81], v[10:11], s[52:53]
	v_fma_f64 v[78:79], v[8:9], s[52:53], -v[78:79]
	v_add_f64 v[118:119], v[186:187], v[118:119]
	v_add_f64 v[62:63], v[82:83], v[62:63]
	v_fma_f64 v[82:83], s[54:55], v[12:13], v[80:81]
	v_add_f64 v[52:53], v[78:79], v[52:53]
	v_fmac_f64_e32 v[80:81], s[50:51], v[12:13]
	v_mul_f64 v[78:79], v[16:17], s[22:23]
	v_add_f64 v[114:115], v[186:187], v[114:115]
	v_add_f64 v[112:113], v[112:113], v[118:119]
	;; [unrolled: 1-line block ×4, first 2 shown]
	v_fma_f64 v[80:81], s[20:21], v[8:9], v[78:79]
	v_fma_f64 v[78:79], v[8:9], s[20:21], -v[78:79]
	v_mul_f64 v[16:17], v[16:17], s[24:25]
	v_add_f64 v[114:115], v[120:121], v[114:115]
	v_add_f64 v[108:109], v[108:109], v[112:113]
	;; [unrolled: 1-line block ×5, first 2 shown]
	v_mul_f64 v[80:81], v[10:11], s[20:21]
	v_add_f64 v[60:61], v[78:79], v[60:61]
	v_fma_f64 v[78:79], s[30:31], v[8:9], v[16:17]
	v_mul_f64 v[10:11], v[10:11], s[30:31]
	v_fma_f64 v[8:9], v[8:9], s[30:31], -v[16:17]
	v_add_f64 v[126:127], v[72:73], -v[76:77]
	v_add_f64 v[114:115], v[116:117], v[114:115]
	v_add_f64 v[102:103], v[102:103], v[108:109]
	;; [unrolled: 1-line block ×4, first 2 shown]
	v_fma_f64 v[78:79], s[36:37], v[12:13], v[10:11]
	v_add_f64 v[16:17], v[8:9], v[4:5]
	v_fmac_f64_e32 v[10:11], s[24:25], v[12:13]
	v_add_f64 v[120:121], v[0:1], v[74:75]
	v_add_f64 v[124:125], v[72:73], v[76:77]
	v_mul_f64 v[8:9], v[126:127], s[50:51]
	v_add_f64 v[94:95], v[94:95], v[102:103]
	v_add_f64 v[102:103], v[82:83], v[92:93]
	v_fma_f64 v[82:83], s[18:19], v[12:13], v[80:81]
	v_fmac_f64_e32 v[80:81], s[22:23], v[12:13]
	v_add_f64 v[122:123], v[10:11], v[6:7]
	v_add_f64 v[0:1], v[0:1], -v[74:75]
	v_fma_f64 v[4:5], s[52:53], v[120:121], v[8:9]
	v_mul_f64 v[10:11], v[124:125], s[52:53]
	v_fma_f64 v[8:9], v[120:121], s[52:53], -v[8:9]
	v_mul_f64 v[12:13], v[126:127], s[34:35]
	v_add_f64 v[110:111], v[110:111], v[114:115]
	v_add_f64 v[88:89], v[88:89], v[94:95]
	;; [unrolled: 1-line block ×3, first 2 shown]
	v_fma_f64 v[6:7], s[54:55], v[0:1], v[10:11]
	v_add_f64 v[76:77], v[8:9], v[14:15]
	v_fmac_f64_e32 v[10:11], s[50:51], v[0:1]
	v_fma_f64 v[8:9], s[28:29], v[120:121], v[12:13]
	v_mul_f64 v[14:15], v[124:125], s[28:29]
	v_fma_f64 v[12:13], v[120:121], s[28:29], -v[12:13]
	v_mul_f64 v[18:19], v[126:127], s[44:45]
	v_add_f64 v[104:105], v[104:105], v[110:111]
	v_add_f64 v[118:119], v[78:79], v[88:89]
	;; [unrolled: 1-line block ×3, first 2 shown]
	v_fma_f64 v[10:11], s[26:27], v[0:1], v[14:15]
	v_add_f64 v[72:73], v[12:13], v[22:23]
	v_fmac_f64_e32 v[14:15], s[34:35], v[0:1]
	v_fma_f64 v[12:13], s[46:47], v[120:121], v[18:19]
	v_mul_f64 v[20:21], v[124:125], s[46:47]
	v_fma_f64 v[18:19], v[120:121], s[46:47], -v[18:19]
	v_add_f64 v[96:97], v[96:97], v[104:105]
	v_add_f64 v[66:67], v[80:81], v[66:67]
	;; [unrolled: 1-line block ×3, first 2 shown]
	v_fma_f64 v[14:15], s[48:49], v[0:1], v[20:21]
	v_add_f64 v[80:81], v[18:19], v[28:29]
	v_fmac_f64_e32 v[20:21], s[44:45], v[0:1]
	v_mul_f64 v[18:19], v[126:127], s[22:23]
	v_add_f64 v[110:111], v[82:83], v[96:97]
	v_add_f64 v[82:83], v[20:21], v[34:35]
	v_fma_f64 v[20:21], s[20:21], v[120:121], v[18:19]
	v_add_f64 v[84:85], v[20:21], v[40:41]
	v_mul_f64 v[20:21], v[124:125], s[20:21]
	v_fma_f64 v[18:19], v[120:121], s[20:21], -v[18:19]
	v_fma_f64 v[22:23], s[18:19], v[0:1], v[20:21]
	v_add_f64 v[88:89], v[18:19], v[36:37]
	v_fmac_f64_e32 v[20:21], s[22:23], v[0:1]
	v_mul_f64 v[18:19], v[126:127], s[38:39]
	v_add_f64 v[90:91], v[20:21], v[42:43]
	v_fma_f64 v[20:21], s[40:41], v[120:121], v[18:19]
	v_add_f64 v[92:93], v[20:21], v[48:49]
	v_mul_f64 v[20:21], v[124:125], s[40:41]
	v_fma_f64 v[18:19], v[120:121], s[40:41], -v[18:19]
	v_add_f64 v[86:87], v[22:23], v[54:55]
	v_fma_f64 v[22:23], s[42:43], v[0:1], v[20:21]
	v_add_f64 v[96:97], v[18:19], v[44:45]
	v_fmac_f64_e32 v[20:21], s[38:39], v[0:1]
	v_mul_f64 v[18:19], v[126:127], s[16:17]
	v_add_f64 v[98:99], v[20:21], v[50:51]
	v_fma_f64 v[20:21], s[14:15], v[120:121], v[18:19]
	v_add_f64 v[100:101], v[20:21], v[56:57]
	v_mul_f64 v[20:21], v[124:125], s[14:15]
	v_fma_f64 v[18:19], v[120:121], s[14:15], -v[18:19]
	v_add_f64 v[94:95], v[22:23], v[62:63]
	;; [unrolled: 10-line block ×3, first 2 shown]
	v_fma_f64 v[22:23], s[36:37], v[0:1], v[20:21]
	v_add_f64 v[112:113], v[18:19], v[60:61]
	v_fmac_f64_e32 v[20:21], s[24:25], v[0:1]
	v_mul_f64 v[18:19], v[126:127], s[10:11]
	v_add_f64 v[114:115], v[20:21], v[66:67]
	v_fma_f64 v[20:21], s[8:9], v[120:121], v[18:19]
	v_add_f64 v[116:117], v[20:21], v[116:117]
	v_mul_f64 v[20:21], v[124:125], s[8:9]
	v_add_f64 v[110:111], v[22:23], v[110:111]
	v_fma_f64 v[22:23], s[0:1], v[0:1], v[20:21]
	v_fma_f64 v[18:19], v[120:121], s[8:9], -v[18:19]
	v_fmac_f64_e32 v[20:21], s[10:11], v[0:1]
	v_add_f64 v[118:119], v[22:23], v[118:119]
	v_add_f64 v[120:121], v[18:19], v[16:17]
	;; [unrolled: 1-line block ×8, first 2 shown]
	s_waitcnt lgkmcnt(0)
	; wave barrier
	ds_write_b128 v255, v[68:71]
	ds_write_b128 v255, v[4:7] offset:272
	ds_write_b128 v255, v[8:11] offset:544
	;; [unrolled: 1-line block ×16, first 2 shown]
	s_waitcnt lgkmcnt(0)
	; wave barrier
	s_waitcnt lgkmcnt(0)
	ds_read_b128 v[92:95], v252
	ds_read_b128 v[184:187], v252 offset:4624
	ds_read_b128 v[112:115], v252 offset:9248
	;; [unrolled: 1-line block ×14, first 2 shown]
	s_and_saveexec_b64 s[0:1], vcc
	s_cbranch_execz .LBB0_7
; %bb.6:
	ds_read_b128 v[72:75], v252 offset:4080
	ds_read_b128 v[76:79], v252 offset:8704
	;; [unrolled: 1-line block ×3, first 2 shown]
.LBB0_7:
	s_or_b64 exec, exec, s[0:1]
	s_waitcnt lgkmcnt(13)
	v_mul_f64 v[4:5], v[142:143], v[184:185]
	v_fma_f64 v[10:11], v[140:141], v[186:187], -v[4:5]
	s_waitcnt lgkmcnt(12)
	v_mul_f64 v[4:5], v[146:147], v[112:113]
	v_fma_f64 v[14:15], v[144:145], v[114:115], -v[4:5]
	;; [unrolled: 3-line block ×6, first 2 shown]
	s_waitcnt lgkmcnt(4)
	v_mul_f64 v[4:5], v[166:167], v[104:105]
	v_mul_f64 v[0:1], v[142:143], v[186:187]
	;; [unrolled: 1-line block ×3, first 2 shown]
	v_fma_f64 v[34:35], v[164:165], v[106:107], -v[4:5]
	s_waitcnt lgkmcnt(3)
	v_mul_f64 v[4:5], v[170:171], v[108:109]
	v_fmac_f64_e32 v[0:1], v[140:141], v[184:185]
	v_fmac_f64_e32 v[12:13], v[144:145], v[112:113]
	v_fma_f64 v[38:39], v[168:169], v[110:111], -v[4:5]
	s_waitcnt lgkmcnt(1)
	v_mul_f64 v[4:5], v[174:175], v[116:117]
	v_fma_f64 v[42:43], v[172:173], v[118:119], -v[4:5]
	s_waitcnt lgkmcnt(0)
	v_mul_f64 v[4:5], v[178:179], v[96:97]
	v_add_f64 v[6:7], v[0:1], v[12:13]
	s_mov_b32 s0, 0xe8584caa
	v_fma_f64 v[46:47], v[176:177], v[98:99], -v[4:5]
	v_add_f64 v[4:5], v[92:93], v[0:1]
	v_fmac_f64_e32 v[92:93], -0.5, v[6:7]
	v_add_f64 v[6:7], v[10:11], -v[14:15]
	s_mov_b32 s1, 0xbfebb67a
	s_mov_b32 s9, 0x3febb67a
	;; [unrolled: 1-line block ×3, first 2 shown]
	v_mul_f64 v[16:17], v[150:151], v[122:123]
	v_fma_f64 v[8:9], s[0:1], v[6:7], v[92:93]
	v_fmac_f64_e32 v[92:93], s[8:9], v[6:7]
	v_add_f64 v[6:7], v[94:95], v[10:11]
	v_add_f64 v[10:11], v[10:11], v[14:15]
	v_fmac_f64_e32 v[16:17], v[148:149], v[120:121]
	v_mul_f64 v[20:21], v[154:155], v[126:127]
	v_fmac_f64_e32 v[94:95], -0.5, v[10:11]
	v_add_f64 v[0:1], v[0:1], -v[12:13]
	v_fmac_f64_e32 v[20:21], v[152:153], v[124:125]
	v_fma_f64 v[10:11], s[8:9], v[0:1], v[94:95]
	v_fmac_f64_e32 v[94:95], s[0:1], v[0:1]
	v_add_f64 v[0:1], v[88:89], v[16:17]
	v_add_f64 v[4:5], v[4:5], v[12:13]
	;; [unrolled: 1-line block ×4, first 2 shown]
	v_mul_f64 v[44:45], v[178:179], v[98:99]
	v_fmac_f64_e32 v[88:89], -0.5, v[0:1]
	v_add_f64 v[0:1], v[18:19], -v[22:23]
	v_fmac_f64_e32 v[44:45], v[176:177], v[96:97]
	v_fma_f64 v[96:97], s[0:1], v[0:1], v[88:89]
	v_fmac_f64_e32 v[88:89], s[8:9], v[0:1]
	v_add_f64 v[0:1], v[90:91], v[18:19]
	v_mul_f64 v[24:25], v[158:159], v[130:131]
	v_add_f64 v[6:7], v[6:7], v[14:15]
	v_add_f64 v[14:15], v[0:1], v[22:23]
	;; [unrolled: 1-line block ×3, first 2 shown]
	v_fmac_f64_e32 v[24:25], v[156:157], v[128:129]
	v_mul_f64 v[28:29], v[162:163], v[102:103]
	v_fmac_f64_e32 v[90:91], -0.5, v[0:1]
	v_add_f64 v[0:1], v[16:17], -v[20:21]
	v_fmac_f64_e32 v[28:29], v[160:161], v[100:101]
	v_fma_f64 v[98:99], s[8:9], v[0:1], v[90:91]
	v_fmac_f64_e32 v[90:91], s[0:1], v[0:1]
	v_add_f64 v[0:1], v[84:85], v[24:25]
	v_add_f64 v[100:101], v[0:1], v[28:29]
	v_add_f64 v[0:1], v[24:25], v[28:29]
	v_mul_f64 v[32:33], v[166:167], v[106:107]
	v_fmac_f64_e32 v[84:85], -0.5, v[0:1]
	v_add_f64 v[0:1], v[26:27], -v[30:31]
	v_fmac_f64_e32 v[32:33], v[164:165], v[104:105]
	v_fma_f64 v[104:105], s[0:1], v[0:1], v[84:85]
	v_fmac_f64_e32 v[84:85], s[8:9], v[0:1]
	v_add_f64 v[0:1], v[86:87], v[26:27]
	v_add_f64 v[102:103], v[0:1], v[30:31]
	v_add_f64 v[0:1], v[26:27], v[30:31]
	;; [unrolled: 9-line block ×3, first 2 shown]
	v_fmac_f64_e32 v[80:81], -0.5, v[0:1]
	v_add_f64 v[0:1], v[34:35], -v[38:39]
	v_fma_f64 v[112:113], s[0:1], v[0:1], v[80:81]
	v_fmac_f64_e32 v[80:81], s[8:9], v[0:1]
	v_add_f64 v[0:1], v[82:83], v[34:35]
	v_mul_f64 v[40:41], v[174:175], v[118:119]
	v_add_f64 v[110:111], v[0:1], v[38:39]
	v_add_f64 v[0:1], v[34:35], v[38:39]
	v_fmac_f64_e32 v[40:41], v[172:173], v[116:117]
	v_fmac_f64_e32 v[82:83], -0.5, v[0:1]
	v_add_f64 v[0:1], v[32:33], -v[36:37]
	v_fma_f64 v[114:115], s[8:9], v[0:1], v[82:83]
	v_fmac_f64_e32 v[82:83], s[0:1], v[0:1]
	v_add_f64 v[0:1], v[68:69], v[40:41]
	v_add_f64 v[116:117], v[0:1], v[44:45]
	;; [unrolled: 1-line block ×3, first 2 shown]
	v_fmac_f64_e32 v[68:69], -0.5, v[0:1]
	v_add_f64 v[0:1], v[42:43], -v[46:47]
	v_fma_f64 v[120:121], s[0:1], v[0:1], v[68:69]
	v_fmac_f64_e32 v[68:69], s[8:9], v[0:1]
	v_add_f64 v[0:1], v[70:71], v[42:43]
	v_add_f64 v[118:119], v[0:1], v[46:47]
	;; [unrolled: 1-line block ×3, first 2 shown]
	v_fmac_f64_e32 v[70:71], -0.5, v[0:1]
	v_add_f64 v[0:1], v[40:41], -v[44:45]
	v_fma_f64 v[122:123], s[8:9], v[0:1], v[70:71]
	v_fmac_f64_e32 v[70:71], s[0:1], v[0:1]
	ds_write_b128 v252, v[4:7]
	ds_write_b128 v252, v[8:11] offset:4624
	ds_write_b128 v252, v[92:95] offset:9248
	;; [unrolled: 1-line block ×14, first 2 shown]
	s_and_saveexec_b64 s[10:11], vcc
	s_cbranch_execz .LBB0_9
; %bb.8:
	v_mul_f64 v[0:1], v[134:135], v[76:77]
	v_mul_f64 v[4:5], v[138:139], v[180:181]
	v_fma_f64 v[0:1], v[132:133], v[78:79], -v[0:1]
	v_fma_f64 v[8:9], v[136:137], v[182:183], -v[4:5]
	v_mul_f64 v[12:13], v[134:135], v[78:79]
	v_mul_f64 v[16:17], v[138:139], v[182:183]
	v_add_f64 v[4:5], v[0:1], v[8:9]
	v_fmac_f64_e32 v[12:13], v[132:133], v[76:77]
	v_fmac_f64_e32 v[16:17], v[136:137], v[180:181]
	v_fma_f64 v[6:7], -0.5, v[4:5], v[74:75]
	v_add_f64 v[4:5], v[12:13], -v[16:17]
	v_fma_f64 v[10:11], s[0:1], v[4:5], v[6:7]
	v_fmac_f64_e32 v[6:7], s[8:9], v[4:5]
	v_add_f64 v[4:5], v[74:75], v[0:1]
	v_add_f64 v[14:15], v[4:5], v[8:9]
	;; [unrolled: 1-line block ×3, first 2 shown]
	v_fma_f64 v[4:5], -0.5, v[4:5], v[72:73]
	v_add_f64 v[0:1], v[0:1], -v[8:9]
	v_fma_f64 v[8:9], s[8:9], v[0:1], v[4:5]
	v_fmac_f64_e32 v[4:5], s[0:1], v[0:1]
	v_add_f64 v[0:1], v[72:73], v[12:13]
	v_add_f64 v[12:13], v[0:1], v[16:17]
	ds_write_b128 v252, v[12:15] offset:4080
	ds_write_b128 v252, v[4:7] offset:8704
	ds_write_b128 v252, v[8:11] offset:13328
.LBB0_9:
	s_or_b64 exec, exec, s[10:11]
	s_waitcnt lgkmcnt(0)
	; wave barrier
	s_waitcnt lgkmcnt(0)
	ds_read_b128 v[4:7], v252
	v_mad_u64_u32 v[16:17], s[0:1], s6, v254, 0
	v_mov_b32_e32 v8, v17
	v_accvgpr_read_b32 v21, a3
	v_mad_u64_u32 v[8:9], s[0:1], s7, v254, v[8:9]
	v_accvgpr_read_b32 v20, a2
	v_mov_b32_e32 v17, v8
	ds_read_b128 v[8:11], v252 offset:816
	v_accvgpr_read_b32 v19, a1
	v_accvgpr_read_b32 v18, a0
	s_waitcnt lgkmcnt(1)
	v_mul_f64 v[12:13], v[20:21], v[6:7]
	v_fmac_f64_e32 v[12:13], v[18:19], v[4:5]
	s_mov_b32 s0, 0x8b5e3104
	v_mul_f64 v[4:5], v[20:21], v[4:5]
	s_mov_b32 s1, 0x3f52e5b8
	v_fma_f64 v[4:5], v[18:19], v[6:7], -v[4:5]
	v_mov_b32_e32 v0, s2
	v_mov_b32_e32 v1, s3
	v_mul_f64 v[14:15], v[4:5], s[0:1]
	v_mad_u64_u32 v[4:5], s[2:3], s4, v2, 0
	v_mov_b32_e32 v6, v5
	v_mad_u64_u32 v[2:3], s[2:3], s5, v2, v[6:7]
	v_mov_b32_e32 v5, v2
	v_lshl_add_u64 v[0:1], v[16:17], 4, v[0:1]
	v_mul_f64 v[12:13], v[12:13], s[0:1]
	v_lshl_add_u64 v[4:5], v[4:5], 4, v[0:1]
	global_store_dwordx4 v[4:5], v[12:15], off
	v_accvgpr_read_b32 v16, a60
	v_accvgpr_read_b32 v18, a62
	;; [unrolled: 1-line block ×6, first 2 shown]
	s_waitcnt lgkmcnt(0)
	v_mul_f64 v[0:1], v[14:15], v[10:11]
	v_mul_f64 v[2:3], v[14:15], v[8:9]
	v_mov_b32_e32 v14, 0x330
	v_fmac_f64_e32 v[0:1], v[12:13], v[8:9]
	v_fma_f64 v[2:3], v[12:13], v[10:11], -v[2:3]
	v_mad_u64_u32 v[12:13], s[2:3], s4, v14, v[4:5]
	ds_read_b128 v[4:7], v252 offset:1632
	s_mul_i32 s2, s5, 0x330
	v_mul_f64 v[0:1], v[0:1], s[0:1]
	v_mul_f64 v[2:3], v[2:3], s[0:1]
	v_add_u32_e32 v13, s2, v13
	v_accvgpr_read_b32 v19, a63
	global_store_dwordx4 v[12:13], v[0:3], off
	ds_read_b128 v[0:3], v252 offset:2448
	v_accvgpr_read_b32 v17, a61
	s_waitcnt lgkmcnt(1)
	v_mul_f64 v[8:9], v[18:19], v[6:7]
	v_fmac_f64_e32 v[8:9], v[16:17], v[4:5]
	v_mul_f64 v[4:5], v[18:19], v[4:5]
	v_fma_f64 v[4:5], v[16:17], v[6:7], -v[4:5]
	v_mad_u64_u32 v[12:13], s[6:7], s4, v14, v[12:13]
	v_mul_f64 v[8:9], v[8:9], s[0:1]
	v_mul_f64 v[10:11], v[4:5], s[0:1]
	v_add_u32_e32 v13, s2, v13
	global_store_dwordx4 v[12:13], v[8:11], off
	v_accvgpr_read_b32 v6, a56
	v_accvgpr_read_b32 v7, a57
	;; [unrolled: 1-line block ×4, first 2 shown]
	s_waitcnt lgkmcnt(0)
	v_mul_f64 v[4:5], v[8:9], v[2:3]
	v_fmac_f64_e32 v[4:5], v[6:7], v[0:1]
	v_mul_f64 v[0:1], v[8:9], v[0:1]
	v_fma_f64 v[0:1], v[6:7], v[2:3], -v[0:1]
	v_mul_f64 v[6:7], v[0:1], s[0:1]
	ds_read_b128 v[0:3], v252 offset:3264
	v_mad_u64_u32 v[12:13], s[6:7], s4, v14, v[12:13]
	v_accvgpr_read_b32 v16, a52
	v_mul_f64 v[4:5], v[4:5], s[0:1]
	v_add_u32_e32 v13, s2, v13
	v_accvgpr_read_b32 v18, a54
	v_accvgpr_read_b32 v19, a55
	global_store_dwordx4 v[12:13], v[4:7], off
	ds_read_b128 v[4:7], v252 offset:4080
	v_accvgpr_read_b32 v17, a53
	s_waitcnt lgkmcnt(1)
	v_mul_f64 v[8:9], v[18:19], v[2:3]
	v_fmac_f64_e32 v[8:9], v[16:17], v[0:1]
	v_mul_f64 v[0:1], v[18:19], v[0:1]
	v_fma_f64 v[0:1], v[16:17], v[2:3], -v[0:1]
	v_mad_u64_u32 v[12:13], s[6:7], s4, v14, v[12:13]
	v_mul_f64 v[8:9], v[8:9], s[0:1]
	v_mul_f64 v[10:11], v[0:1], s[0:1]
	v_add_u32_e32 v13, s2, v13
	global_store_dwordx4 v[12:13], v[8:11], off
	v_mad_u64_u32 v[12:13], s[6:7], s4, v14, v[12:13]
	s_nop 0
	v_accvgpr_read_b32 v8, a48
	v_accvgpr_read_b32 v10, a50
	;; [unrolled: 1-line block ×4, first 2 shown]
	s_waitcnt lgkmcnt(0)
	v_mul_f64 v[0:1], v[10:11], v[6:7]
	v_mul_f64 v[2:3], v[10:11], v[4:5]
	v_fmac_f64_e32 v[0:1], v[8:9], v[4:5]
	v_fma_f64 v[2:3], v[8:9], v[6:7], -v[2:3]
	ds_read_b128 v[4:7], v252 offset:4896
	v_accvgpr_read_b32 v16, a44
	v_mul_f64 v[0:1], v[0:1], s[0:1]
	v_mul_f64 v[2:3], v[2:3], s[0:1]
	v_add_u32_e32 v13, s2, v13
	v_accvgpr_read_b32 v18, a46
	v_accvgpr_read_b32 v19, a47
	global_store_dwordx4 v[12:13], v[0:3], off
	ds_read_b128 v[0:3], v252 offset:5712
	v_accvgpr_read_b32 v17, a45
	s_waitcnt lgkmcnt(1)
	v_mul_f64 v[8:9], v[18:19], v[6:7]
	v_fmac_f64_e32 v[8:9], v[16:17], v[4:5]
	v_mul_f64 v[4:5], v[18:19], v[4:5]
	v_fma_f64 v[4:5], v[16:17], v[6:7], -v[4:5]
	v_mad_u64_u32 v[12:13], s[6:7], s4, v14, v[12:13]
	v_mul_f64 v[8:9], v[8:9], s[0:1]
	v_mul_f64 v[10:11], v[4:5], s[0:1]
	v_add_u32_e32 v13, s2, v13
	global_store_dwordx4 v[12:13], v[8:11], off
	v_accvgpr_read_b32 v6, a32
	v_accvgpr_read_b32 v7, a33
	;; [unrolled: 1-line block ×4, first 2 shown]
	s_waitcnt lgkmcnt(0)
	v_mul_f64 v[4:5], v[8:9], v[2:3]
	v_fmac_f64_e32 v[4:5], v[6:7], v[0:1]
	v_mul_f64 v[0:1], v[8:9], v[0:1]
	v_fma_f64 v[0:1], v[6:7], v[2:3], -v[0:1]
	v_mul_f64 v[6:7], v[0:1], s[0:1]
	ds_read_b128 v[0:3], v252 offset:6528
	v_mad_u64_u32 v[12:13], s[6:7], s4, v14, v[12:13]
	v_accvgpr_read_b32 v16, a16
	v_mul_f64 v[4:5], v[4:5], s[0:1]
	v_add_u32_e32 v13, s2, v13
	v_accvgpr_read_b32 v18, a18
	v_accvgpr_read_b32 v19, a19
	global_store_dwordx4 v[12:13], v[4:7], off
	ds_read_b128 v[4:7], v252 offset:7344
	v_accvgpr_read_b32 v17, a17
	s_waitcnt lgkmcnt(1)
	v_mul_f64 v[8:9], v[18:19], v[2:3]
	v_fmac_f64_e32 v[8:9], v[16:17], v[0:1]
	v_mul_f64 v[0:1], v[18:19], v[0:1]
	v_fma_f64 v[0:1], v[16:17], v[2:3], -v[0:1]
	v_mad_u64_u32 v[12:13], s[6:7], s4, v14, v[12:13]
	v_mul_f64 v[8:9], v[8:9], s[0:1]
	v_mul_f64 v[10:11], v[0:1], s[0:1]
	v_add_u32_e32 v13, s2, v13
	global_store_dwordx4 v[12:13], v[8:11], off
	v_mad_u64_u32 v[12:13], s[6:7], s4, v14, v[12:13]
	s_nop 0
	v_accvgpr_read_b32 v8, a12
	v_accvgpr_read_b32 v10, a14
	;; [unrolled: 1-line block ×4, first 2 shown]
	s_waitcnt lgkmcnt(0)
	v_mul_f64 v[0:1], v[10:11], v[6:7]
	v_mul_f64 v[2:3], v[10:11], v[4:5]
	v_fmac_f64_e32 v[0:1], v[8:9], v[4:5]
	v_fma_f64 v[2:3], v[8:9], v[6:7], -v[2:3]
	ds_read_b128 v[4:7], v252 offset:8160
	v_accvgpr_read_b32 v19, a7
	v_mul_f64 v[0:1], v[0:1], s[0:1]
	v_mul_f64 v[2:3], v[2:3], s[0:1]
	v_add_u32_e32 v13, s2, v13
	v_accvgpr_read_b32 v18, a6
	global_store_dwordx4 v[12:13], v[0:3], off
	ds_read_b128 v[0:3], v252 offset:8976
	v_accvgpr_read_b32 v17, a5
	v_accvgpr_read_b32 v16, a4
	s_waitcnt lgkmcnt(1)
	v_mul_f64 v[8:9], v[18:19], v[6:7]
	v_fmac_f64_e32 v[8:9], v[16:17], v[4:5]
	v_mul_f64 v[4:5], v[18:19], v[4:5]
	v_fma_f64 v[4:5], v[16:17], v[6:7], -v[4:5]
	v_mad_u64_u32 v[12:13], s[6:7], s4, v14, v[12:13]
	v_mul_f64 v[8:9], v[8:9], s[0:1]
	v_mul_f64 v[10:11], v[4:5], s[0:1]
	v_add_u32_e32 v13, s2, v13
	global_store_dwordx4 v[12:13], v[8:11], off
	v_accvgpr_read_b32 v6, a8
	v_accvgpr_read_b32 v7, a9
	;; [unrolled: 1-line block ×4, first 2 shown]
	s_waitcnt lgkmcnt(0)
	v_mul_f64 v[4:5], v[8:9], v[2:3]
	v_fmac_f64_e32 v[4:5], v[6:7], v[0:1]
	v_mul_f64 v[0:1], v[8:9], v[0:1]
	v_fma_f64 v[0:1], v[6:7], v[2:3], -v[0:1]
	v_mul_f64 v[6:7], v[0:1], s[0:1]
	ds_read_b128 v[0:3], v252 offset:9792
	v_mad_u64_u32 v[12:13], s[6:7], s4, v14, v[12:13]
	v_accvgpr_read_b32 v16, a28
	v_mul_f64 v[4:5], v[4:5], s[0:1]
	v_add_u32_e32 v13, s2, v13
	v_accvgpr_read_b32 v18, a30
	v_accvgpr_read_b32 v19, a31
	global_store_dwordx4 v[12:13], v[4:7], off
	ds_read_b128 v[4:7], v252 offset:10608
	v_accvgpr_read_b32 v17, a29
	s_waitcnt lgkmcnt(1)
	v_mul_f64 v[8:9], v[18:19], v[2:3]
	v_fmac_f64_e32 v[8:9], v[16:17], v[0:1]
	v_mul_f64 v[0:1], v[18:19], v[0:1]
	v_fma_f64 v[0:1], v[16:17], v[2:3], -v[0:1]
	v_mad_u64_u32 v[12:13], s[6:7], s4, v14, v[12:13]
	v_mul_f64 v[8:9], v[8:9], s[0:1]
	v_mul_f64 v[10:11], v[0:1], s[0:1]
	v_add_u32_e32 v13, s2, v13
	global_store_dwordx4 v[12:13], v[8:11], off
	v_mad_u64_u32 v[12:13], s[6:7], s4, v14, v[12:13]
	s_nop 0
	v_accvgpr_read_b32 v8, a20
	v_accvgpr_read_b32 v10, a22
	;; [unrolled: 1-line block ×4, first 2 shown]
	s_waitcnt lgkmcnt(0)
	v_mul_f64 v[0:1], v[10:11], v[6:7]
	v_mul_f64 v[2:3], v[10:11], v[4:5]
	v_fmac_f64_e32 v[0:1], v[8:9], v[4:5]
	v_fma_f64 v[2:3], v[8:9], v[6:7], -v[2:3]
	ds_read_b128 v[4:7], v252 offset:11424
	v_accvgpr_read_b32 v16, a40
	v_mul_f64 v[0:1], v[0:1], s[0:1]
	v_mul_f64 v[2:3], v[2:3], s[0:1]
	v_add_u32_e32 v13, s2, v13
	v_accvgpr_read_b32 v18, a42
	v_accvgpr_read_b32 v19, a43
	global_store_dwordx4 v[12:13], v[0:3], off
	ds_read_b128 v[0:3], v252 offset:12240
	v_accvgpr_read_b32 v17, a41
	s_waitcnt lgkmcnt(1)
	v_mul_f64 v[8:9], v[18:19], v[6:7]
	v_fmac_f64_e32 v[8:9], v[16:17], v[4:5]
	v_mul_f64 v[4:5], v[18:19], v[4:5]
	v_fma_f64 v[4:5], v[16:17], v[6:7], -v[4:5]
	v_mad_u64_u32 v[12:13], s[6:7], s4, v14, v[12:13]
	v_mul_f64 v[8:9], v[8:9], s[0:1]
	v_mul_f64 v[10:11], v[4:5], s[0:1]
	v_add_u32_e32 v13, s2, v13
	global_store_dwordx4 v[12:13], v[8:11], off
	v_accvgpr_read_b32 v6, a24
	v_accvgpr_read_b32 v7, a25
	;; [unrolled: 1-line block ×4, first 2 shown]
	s_waitcnt lgkmcnt(0)
	v_mul_f64 v[4:5], v[8:9], v[2:3]
	v_fmac_f64_e32 v[4:5], v[6:7], v[0:1]
	v_mul_f64 v[0:1], v[8:9], v[0:1]
	v_fma_f64 v[0:1], v[6:7], v[2:3], -v[0:1]
	v_mul_f64 v[6:7], v[0:1], s[0:1]
	ds_read_b128 v[0:3], v252 offset:13056
	v_mad_u64_u32 v[8:9], s[6:7], s4, v14, v[12:13]
	v_accvgpr_read_b32 v10, a36
	v_mul_f64 v[4:5], v[4:5], s[0:1]
	v_add_u32_e32 v9, s2, v9
	v_accvgpr_read_b32 v12, a38
	v_accvgpr_read_b32 v13, a39
	global_store_dwordx4 v[8:9], v[4:7], off
	v_accvgpr_read_b32 v11, a37
	s_waitcnt lgkmcnt(0)
	v_mul_f64 v[4:5], v[12:13], v[2:3]
	v_fmac_f64_e32 v[4:5], v[10:11], v[0:1]
	v_mul_f64 v[0:1], v[12:13], v[0:1]
	v_fma_f64 v[0:1], v[10:11], v[2:3], -v[0:1]
	v_mul_f64 v[4:5], v[4:5], s[0:1]
	v_mul_f64 v[6:7], v[0:1], s[0:1]
	v_mad_u64_u32 v[0:1], s[0:1], s4, v14, v[8:9]
	v_add_u32_e32 v1, s2, v1
	global_store_dwordx4 v[0:1], v[4:7], off
.LBB0_10:
	s_endpgm
	.section	.rodata,"a",@progbits
	.p2align	6, 0x0
	.amdhsa_kernel bluestein_single_fwd_len867_dim1_dp_op_CI_CI
		.amdhsa_group_segment_fixed_size 13872
		.amdhsa_private_segment_fixed_size 0
		.amdhsa_kernarg_size 104
		.amdhsa_user_sgpr_count 2
		.amdhsa_user_sgpr_dispatch_ptr 0
		.amdhsa_user_sgpr_queue_ptr 0
		.amdhsa_user_sgpr_kernarg_segment_ptr 1
		.amdhsa_user_sgpr_dispatch_id 0
		.amdhsa_user_sgpr_kernarg_preload_length 0
		.amdhsa_user_sgpr_kernarg_preload_offset 0
		.amdhsa_user_sgpr_private_segment_size 0
		.amdhsa_uses_dynamic_stack 0
		.amdhsa_enable_private_segment 0
		.amdhsa_system_sgpr_workgroup_id_x 1
		.amdhsa_system_sgpr_workgroup_id_y 0
		.amdhsa_system_sgpr_workgroup_id_z 0
		.amdhsa_system_sgpr_workgroup_info 0
		.amdhsa_system_vgpr_workitem_id 0
		.amdhsa_next_free_vgpr 324
		.amdhsa_next_free_sgpr 61
		.amdhsa_accum_offset 256
		.amdhsa_reserve_vcc 1
		.amdhsa_float_round_mode_32 0
		.amdhsa_float_round_mode_16_64 0
		.amdhsa_float_denorm_mode_32 3
		.amdhsa_float_denorm_mode_16_64 3
		.amdhsa_dx10_clamp 1
		.amdhsa_ieee_mode 1
		.amdhsa_fp16_overflow 0
		.amdhsa_tg_split 0
		.amdhsa_exception_fp_ieee_invalid_op 0
		.amdhsa_exception_fp_denorm_src 0
		.amdhsa_exception_fp_ieee_div_zero 0
		.amdhsa_exception_fp_ieee_overflow 0
		.amdhsa_exception_fp_ieee_underflow 0
		.amdhsa_exception_fp_ieee_inexact 0
		.amdhsa_exception_int_div_zero 0
	.end_amdhsa_kernel
	.text
.Lfunc_end0:
	.size	bluestein_single_fwd_len867_dim1_dp_op_CI_CI, .Lfunc_end0-bluestein_single_fwd_len867_dim1_dp_op_CI_CI
                                        ; -- End function
	.section	.AMDGPU.csdata,"",@progbits
; Kernel info:
; codeLenInByte = 32716
; NumSgprs: 67
; NumVgprs: 256
; NumAgprs: 68
; TotalNumVgprs: 324
; ScratchSize: 0
; MemoryBound: 0
; FloatMode: 240
; IeeeMode: 1
; LDSByteSize: 13872 bytes/workgroup (compile time only)
; SGPRBlocks: 8
; VGPRBlocks: 40
; NumSGPRsForWavesPerEU: 67
; NumVGPRsForWavesPerEU: 324
; AccumOffset: 256
; Occupancy: 1
; WaveLimiterHint : 1
; COMPUTE_PGM_RSRC2:SCRATCH_EN: 0
; COMPUTE_PGM_RSRC2:USER_SGPR: 2
; COMPUTE_PGM_RSRC2:TRAP_HANDLER: 0
; COMPUTE_PGM_RSRC2:TGID_X_EN: 1
; COMPUTE_PGM_RSRC2:TGID_Y_EN: 0
; COMPUTE_PGM_RSRC2:TGID_Z_EN: 0
; COMPUTE_PGM_RSRC2:TIDIG_COMP_CNT: 0
; COMPUTE_PGM_RSRC3_GFX90A:ACCUM_OFFSET: 63
; COMPUTE_PGM_RSRC3_GFX90A:TG_SPLIT: 0
	.text
	.p2alignl 6, 3212836864
	.fill 256, 4, 3212836864
	.type	__hip_cuid_97cbfa8afaeec7ca,@object ; @__hip_cuid_97cbfa8afaeec7ca
	.section	.bss,"aw",@nobits
	.globl	__hip_cuid_97cbfa8afaeec7ca
__hip_cuid_97cbfa8afaeec7ca:
	.byte	0                               ; 0x0
	.size	__hip_cuid_97cbfa8afaeec7ca, 1

	.ident	"AMD clang version 19.0.0git (https://github.com/RadeonOpenCompute/llvm-project roc-6.4.0 25133 c7fe45cf4b819c5991fe208aaa96edf142730f1d)"
	.section	".note.GNU-stack","",@progbits
	.addrsig
	.addrsig_sym __hip_cuid_97cbfa8afaeec7ca
	.amdgpu_metadata
---
amdhsa.kernels:
  - .agpr_count:     68
    .args:
      - .actual_access:  read_only
        .address_space:  global
        .offset:         0
        .size:           8
        .value_kind:     global_buffer
      - .actual_access:  read_only
        .address_space:  global
        .offset:         8
        .size:           8
        .value_kind:     global_buffer
      - .actual_access:  read_only
        .address_space:  global
        .offset:         16
        .size:           8
        .value_kind:     global_buffer
      - .actual_access:  read_only
        .address_space:  global
        .offset:         24
        .size:           8
        .value_kind:     global_buffer
      - .actual_access:  read_only
        .address_space:  global
        .offset:         32
        .size:           8
        .value_kind:     global_buffer
      - .offset:         40
        .size:           8
        .value_kind:     by_value
      - .address_space:  global
        .offset:         48
        .size:           8
        .value_kind:     global_buffer
      - .address_space:  global
        .offset:         56
        .size:           8
        .value_kind:     global_buffer
      - .address_space:  global
        .offset:         64
        .size:           8
        .value_kind:     global_buffer
      - .address_space:  global
        .offset:         72
        .size:           8
        .value_kind:     global_buffer
      - .offset:         80
        .size:           4
        .value_kind:     by_value
      - .address_space:  global
        .offset:         88
        .size:           8
        .value_kind:     global_buffer
      - .address_space:  global
        .offset:         96
        .size:           8
        .value_kind:     global_buffer
    .group_segment_fixed_size: 13872
    .kernarg_segment_align: 8
    .kernarg_segment_size: 104
    .language:       OpenCL C
    .language_version:
      - 2
      - 0
    .max_flat_workgroup_size: 51
    .name:           bluestein_single_fwd_len867_dim1_dp_op_CI_CI
    .private_segment_fixed_size: 0
    .sgpr_count:     67
    .sgpr_spill_count: 0
    .symbol:         bluestein_single_fwd_len867_dim1_dp_op_CI_CI.kd
    .uniform_work_group_size: 1
    .uses_dynamic_stack: false
    .vgpr_count:     324
    .vgpr_spill_count: 0
    .wavefront_size: 64
amdhsa.target:   amdgcn-amd-amdhsa--gfx950
amdhsa.version:
  - 1
  - 2
...

	.end_amdgpu_metadata
